;; amdgpu-corpus repo=ROCm/rocFFT kind=compiled arch=gfx1030 opt=O3
	.text
	.amdgcn_target "amdgcn-amd-amdhsa--gfx1030"
	.amdhsa_code_object_version 6
	.protected	bluestein_single_fwd_len572_dim1_half_op_CI_CI ; -- Begin function bluestein_single_fwd_len572_dim1_half_op_CI_CI
	.globl	bluestein_single_fwd_len572_dim1_half_op_CI_CI
	.p2align	8
	.type	bluestein_single_fwd_len572_dim1_half_op_CI_CI,@function
bluestein_single_fwd_len572_dim1_half_op_CI_CI: ; @bluestein_single_fwd_len572_dim1_half_op_CI_CI
; %bb.0:
	s_load_dwordx4 s[0:3], s[4:5], 0x28
	v_mul_u32_u24_e32 v1, 0x4ed, v0
	v_mov_b32_e32 v18, 0
	v_lshrrev_b32_e32 v1, 16, v1
	v_add_nc_u32_e32 v17, s6, v1
	s_waitcnt lgkmcnt(0)
	v_cmp_gt_u64_e32 vcc_lo, s[0:1], v[17:18]
	s_and_saveexec_b32 s0, vcc_lo
	s_cbranch_execz .LBB0_23
; %bb.1:
	s_clause 0x1
	s_load_dwordx2 s[18:19], s[4:5], 0x0
	s_load_dwordx2 s[12:13], s[4:5], 0x38
	v_mul_lo_u16 v1, v1, 52
	v_sub_nc_u16 v0, v0, v1
	v_and_b32_e32 v34, 0xffff, v0
	v_cmp_gt_u16_e32 vcc_lo, 44, v0
	v_lshlrev_b32_e32 v33, 2, v34
	s_and_saveexec_b32 s1, vcc_lo
	s_cbranch_execz .LBB0_3
; %bb.2:
	s_load_dwordx2 s[6:7], s[4:5], 0x18
	v_add_nc_u32_e32 v31, 0x400, v33
	s_waitcnt lgkmcnt(0)
	s_load_dwordx4 s[8:11], s[6:7], 0x0
	s_clause 0x2
	global_load_dword v7, v33, s[18:19]
	global_load_dword v8, v33, s[18:19] offset:176
	global_load_dword v9, v33, s[18:19] offset:352
	s_waitcnt lgkmcnt(0)
	v_mad_u64_u32 v[0:1], null, s10, v17, 0
	v_mad_u64_u32 v[2:3], null, s8, v34, 0
	s_mul_i32 s6, s9, 0xb0
	s_mul_hi_u32 s7, s8, 0xb0
	s_add_i32 s7, s7, s6
	v_mad_u64_u32 v[4:5], null, s11, v17, v[1:2]
	v_mad_u64_u32 v[5:6], null, s9, v34, v[3:4]
	v_mov_b32_e32 v1, v4
	v_add_co_u32 v4, s0, s18, v33
	v_add_co_ci_u32_e64 v6, null, s19, 0, s0
	v_lshlrev_b64 v[0:1], 2, v[0:1]
	v_mov_b32_e32 v3, v5
	v_add_co_u32 v0, s0, s2, v0
	v_lshlrev_b64 v[2:3], 2, v[2:3]
	v_add_co_ci_u32_e64 v1, s0, s3, v1, s0
	s_mul_i32 s2, s8, 0xb0
	v_add_co_u32 v0, s0, v0, v2
	v_add_co_ci_u32_e64 v1, s0, v1, v3, s0
	v_add_co_u32 v2, s0, v0, s2
	v_add_co_ci_u32_e64 v3, s0, s7, v1, s0
	s_clause 0x1
	global_load_dword v10, v[0:1], off
	global_load_dword v11, v[2:3], off
	v_add_co_u32 v0, s0, v2, s2
	v_add_co_ci_u32_e64 v1, s0, s7, v3, s0
	v_add_co_u32 v2, s0, v0, s2
	v_add_co_ci_u32_e64 v3, s0, s7, v1, s0
	s_clause 0x1
	global_load_dword v12, v[0:1], off
	global_load_dword v13, v[2:3], off
	v_add_co_u32 v0, s0, v2, s2
	v_add_co_ci_u32_e64 v1, s0, s7, v3, s0
	v_add_co_u32 v2, s0, v0, s2
	v_add_co_ci_u32_e64 v3, s0, s7, v1, s0
	s_clause 0x3
	global_load_dword v14, v33, s[18:19] offset:528
	global_load_dword v15, v33, s[18:19] offset:704
	;; [unrolled: 1-line block ×4, first 2 shown]
	global_load_dword v19, v[0:1], off
	global_load_dword v20, v[2:3], off
	v_add_co_u32 v0, s0, v2, s2
	v_add_co_ci_u32_e64 v1, s0, s7, v3, s0
	s_clause 0x3
	global_load_dword v21, v33, s[18:19] offset:1232
	global_load_dword v22, v33, s[18:19] offset:1408
	;; [unrolled: 1-line block ×4, first 2 shown]
	v_add_co_u32 v2, s0, v0, s2
	v_add_co_ci_u32_e64 v3, s0, s7, v1, s0
	global_load_dword v25, v[0:1], off
	v_add_co_u32 v0, s0, v2, s2
	v_add_co_ci_u32_e64 v1, s0, s7, v3, s0
	global_load_dword v26, v[2:3], off
	v_add_co_u32 v2, s0, v0, s2
	v_add_co_ci_u32_e64 v3, s0, s7, v1, s0
	global_load_dword v27, v[0:1], off
	v_add_co_u32 v0, s0, v2, s2
	v_add_co_ci_u32_e64 v1, s0, s7, v3, s0
	global_load_dword v28, v[2:3], off
	v_add_co_u32 v2, s0, v0, s2
	v_add_co_ci_u32_e64 v3, s0, s7, v1, s0
	global_load_dword v29, v[0:1], off
	v_add_co_u32 v0, s0, v2, s2
	v_add_co_ci_u32_e64 v1, s0, s7, v3, s0
	v_add_co_u32 v4, s0, 0x800, v4
	v_add_co_ci_u32_e64 v5, s0, 0, v6, s0
	global_load_dword v2, v[2:3], off
	global_load_dword v0, v[0:1], off
	s_clause 0x1
	global_load_dword v1, v33, s[18:19] offset:1936
	global_load_dword v3, v[4:5], off offset:64
	s_waitcnt vmcnt(22)
	v_lshrrev_b32_e32 v4, 16, v10
	v_mul_f16_sdwa v5, v7, v10 dst_sel:DWORD dst_unused:UNUSED_PAD src0_sel:WORD_1 src1_sel:DWORD
	s_waitcnt vmcnt(21)
	v_lshrrev_b32_e32 v30, 16, v11
	v_mul_f16_sdwa v32, v8, v11 dst_sel:DWORD dst_unused:UNUSED_PAD src0_sel:WORD_1 src1_sel:DWORD
	v_mul_f16_sdwa v6, v7, v4 dst_sel:DWORD dst_unused:UNUSED_PAD src0_sel:WORD_1 src1_sel:DWORD
	v_fma_f16 v4, v7, v4, -v5
	v_mul_f16_sdwa v5, v8, v30 dst_sel:DWORD dst_unused:UNUSED_PAD src0_sel:WORD_1 src1_sel:DWORD
	v_fmac_f16_e32 v6, v7, v10
	v_fma_f16 v10, v8, v30, -v32
	s_waitcnt vmcnt(20)
	v_lshrrev_b32_e32 v7, 16, v12
	v_mul_f16_sdwa v30, v9, v12 dst_sel:DWORD dst_unused:UNUSED_PAD src0_sel:WORD_1 src1_sel:DWORD
	v_pack_b32_f16 v4, v6, v4
	v_fmac_f16_e32 v5, v8, v11
	s_waitcnt vmcnt(19)
	v_lshrrev_b32_e32 v8, 16, v13
	v_mul_f16_sdwa v6, v9, v7 dst_sel:DWORD dst_unused:UNUSED_PAD src0_sel:WORD_1 src1_sel:DWORD
	v_fma_f16 v7, v9, v7, -v30
	s_waitcnt vmcnt(18)
	v_mul_f16_sdwa v11, v14, v13 dst_sel:DWORD dst_unused:UNUSED_PAD src0_sel:WORD_1 src1_sel:DWORD
	v_pack_b32_f16 v5, v5, v10
	v_fmac_f16_e32 v6, v9, v12
	v_mul_f16_sdwa v9, v14, v8 dst_sel:DWORD dst_unused:UNUSED_PAD src0_sel:WORD_1 src1_sel:DWORD
	s_waitcnt vmcnt(14)
	v_lshrrev_b32_e32 v10, 16, v19
	v_fma_f16 v8, v14, v8, -v11
	v_mul_f16_sdwa v11, v15, v19 dst_sel:DWORD dst_unused:UNUSED_PAD src0_sel:WORD_1 src1_sel:DWORD
	ds_write2_b32 v33, v4, v5 offset1:44
	v_pack_b32_f16 v4, v6, v7
	v_fmac_f16_e32 v9, v14, v13
	v_mul_f16_sdwa v5, v15, v10 dst_sel:DWORD dst_unused:UNUSED_PAD src0_sel:WORD_1 src1_sel:DWORD
	s_waitcnt vmcnt(13)
	v_lshrrev_b32_e32 v6, 16, v20
	v_mul_f16_sdwa v7, v16, v20 dst_sel:DWORD dst_unused:UNUSED_PAD src0_sel:WORD_1 src1_sel:DWORD
	v_fma_f16 v10, v15, v10, -v11
	v_pack_b32_f16 v8, v9, v8
	v_fmac_f16_e32 v5, v15, v19
	v_mul_f16_sdwa v9, v16, v6 dst_sel:DWORD dst_unused:UNUSED_PAD src0_sel:WORD_1 src1_sel:DWORD
	v_fma_f16 v6, v16, v6, -v7
	s_waitcnt vmcnt(8)
	v_lshrrev_b32_e32 v7, 16, v25
	v_mul_f16_sdwa v11, v18, v25 dst_sel:DWORD dst_unused:UNUSED_PAD src0_sel:WORD_1 src1_sel:DWORD
	ds_write2_b32 v33, v4, v8 offset0:88 offset1:132
	v_pack_b32_f16 v4, v5, v10
	v_fmac_f16_e32 v9, v16, v20
	v_mul_f16_sdwa v5, v18, v7 dst_sel:DWORD dst_unused:UNUSED_PAD src0_sel:WORD_1 src1_sel:DWORD
	s_waitcnt vmcnt(7)
	v_lshrrev_b32_e32 v8, 16, v26
	v_mul_f16_sdwa v10, v21, v26 dst_sel:DWORD dst_unused:UNUSED_PAD src0_sel:WORD_1 src1_sel:DWORD
	v_fma_f16 v7, v18, v7, -v11
	v_pack_b32_f16 v6, v9, v6
	v_fmac_f16_e32 v5, v18, v25
	v_mul_f16_sdwa v9, v21, v8 dst_sel:DWORD dst_unused:UNUSED_PAD src0_sel:WORD_1 src1_sel:DWORD
	v_fma_f16 v8, v21, v8, -v10
	s_waitcnt vmcnt(6)
	v_lshrrev_b32_e32 v10, 16, v27
	v_mul_f16_sdwa v11, v22, v27 dst_sel:DWORD dst_unused:UNUSED_PAD src0_sel:WORD_1 src1_sel:DWORD
	v_pack_b32_f16 v5, v5, v7
	v_fmac_f16_e32 v9, v21, v26
	s_waitcnt vmcnt(5)
	v_lshrrev_b32_e32 v7, 16, v28
	v_mul_f16_sdwa v13, v23, v28 dst_sel:DWORD dst_unused:UNUSED_PAD src0_sel:WORD_1 src1_sel:DWORD
	v_mul_f16_sdwa v12, v22, v10 dst_sel:DWORD dst_unused:UNUSED_PAD src0_sel:WORD_1 src1_sel:DWORD
	v_fma_f16 v10, v22, v10, -v11
	v_pack_b32_f16 v8, v9, v8
	v_mul_f16_sdwa v9, v23, v7 dst_sel:DWORD dst_unused:UNUSED_PAD src0_sel:WORD_1 src1_sel:DWORD
	v_fma_f16 v7, v23, v7, -v13
	s_waitcnt vmcnt(4)
	v_lshrrev_b32_e32 v11, 16, v29
	v_mul_f16_sdwa v13, v24, v29 dst_sel:DWORD dst_unused:UNUSED_PAD src0_sel:WORD_1 src1_sel:DWORD
	s_waitcnt vmcnt(3)
	v_lshrrev_b32_e32 v14, 16, v2
	s_waitcnt vmcnt(2)
	v_lshrrev_b32_e32 v15, 16, v0
	s_waitcnt vmcnt(0)
	v_mul_f16_sdwa v20, v3, v0 dst_sel:DWORD dst_unused:UNUSED_PAD src0_sel:WORD_1 src1_sel:DWORD
	v_mul_f16_sdwa v16, v24, v11 dst_sel:DWORD dst_unused:UNUSED_PAD src0_sel:WORD_1 src1_sel:DWORD
	v_fma_f16 v11, v24, v11, -v13
	v_mul_f16_sdwa v13, v1, v2 dst_sel:DWORD dst_unused:UNUSED_PAD src0_sel:WORD_1 src1_sel:DWORD
	v_mul_f16_sdwa v18, v1, v14 dst_sel:DWORD dst_unused:UNUSED_PAD src0_sel:WORD_1 src1_sel:DWORD
	;; [unrolled: 1-line block ×3, first 2 shown]
	v_fmac_f16_e32 v12, v22, v27
	v_fmac_f16_e32 v9, v23, v28
	;; [unrolled: 1-line block ×3, first 2 shown]
	v_fma_f16 v13, v1, v14, -v13
	v_fmac_f16_e32 v18, v1, v2
	v_fmac_f16_e32 v19, v3, v0
	v_fma_f16 v0, v3, v15, -v20
	v_pack_b32_f16 v1, v12, v10
	v_pack_b32_f16 v2, v9, v7
	;; [unrolled: 1-line block ×5, first 2 shown]
	ds_write2_b32 v33, v4, v6 offset0:176 offset1:220
	ds_write2_b32 v31, v5, v8 offset0:8 offset1:52
	;; [unrolled: 1-line block ×4, first 2 shown]
	ds_write_b32 v33, v0 offset:2112
.LBB0_3:
	s_or_b32 exec_lo, exec_lo, s1
	s_clause 0x1
	s_load_dwordx2 s[0:1], s[4:5], 0x20
	s_load_dwordx2 s[2:3], s[4:5], 0x8
	v_mov_b32_e32 v6, 0
	s_waitcnt lgkmcnt(0)
	s_barrier
	buffer_gl0_inv
                                        ; implicit-def: $vgpr12
                                        ; implicit-def: $vgpr1
                                        ; implicit-def: $vgpr3
                                        ; implicit-def: $vgpr5
                                        ; implicit-def: $vgpr9
                                        ; implicit-def: $vgpr11
	s_and_saveexec_b32 s4, vcc_lo
	s_cbranch_execz .LBB0_5
; %bb.4:
	v_add_nc_u32_e32 v0, 0x400, v33
	ds_read2_b32 v[6:7], v33 offset1:44
	ds_read2_b32 v[10:11], v33 offset0:88 offset1:132
	ds_read2_b32 v[8:9], v33 offset0:176 offset1:220
	;; [unrolled: 1-line block ×5, first 2 shown]
	ds_read_b32 v12, v33 offset:2112
.LBB0_5:
	s_or_b32 exec_lo, exec_lo, s4
	s_waitcnt lgkmcnt(0)
	v_pk_add_f16 v13, v7, v12 neg_lo:[0,1] neg_hi:[0,1]
	v_mov_b32_e32 v15, 0xb770
	v_pk_add_f16 v16, v12, v7
	v_pk_add_f16 v14, v10, v1 neg_lo:[0,1] neg_hi:[0,1]
	v_mov_b32_e32 v63, 0xba95
	v_pk_add_f16 v18, v1, v10
	v_mul_f16_sdwa v31, v13, v15 dst_sel:DWORD dst_unused:UNUSED_PAD src0_sel:WORD_1 src1_sel:DWORD
	v_lshrrev_b32_e32 v44, 16, v16
	v_mul_f16_e32 v42, 0xba95, v13
	v_mul_f16_sdwa v27, v14, v63 dst_sel:DWORD dst_unused:UNUSED_PAD src0_sel:WORD_1 src1_sel:DWORD
	v_pk_add_f16 v15, v11, v0 neg_lo:[0,1] neg_hi:[0,1]
	v_fmamk_f16 v19, v16, 0x3b15, v31
	v_pk_mul_f16 v20, 0x3b15388b, v16
	v_fma_f16 v21, v44, 0x388b, -v42
	v_fmamk_f16 v22, v18, 0x388b, v27
	v_pk_mul_f16 v23, 0x388bb5ac, v18
	v_add_f16_e32 v19, v19, v6
	v_mov_b32_e32 v66, 0xbbf1
	v_lshrrev_b32_e32 v46, 16, v18
	v_mul_f16_e32 v45, 0xbb7b, v14
	v_pk_fma_f16 v29, 0xba95b770, v13, v20 op_sel:[0,0,1] op_sel_hi:[1,1,0] neg_lo:[0,1,0] neg_hi:[0,1,0]
	v_add_f16_e32 v24, v22, v19
	v_pk_add_f16 v19, v0, v11
	v_pk_fma_f16 v30, 0xba95b770, v13, v20 op_sel:[0,0,1] op_sel_hi:[1,1,0]
	v_add_f16_sdwa v21, v21, v6 dst_sel:DWORD dst_unused:UNUSED_PAD src0_sel:DWORD src1_sel:WORD_1
	v_pk_fma_f16 v32, 0xbb7bba95, v14, v23 op_sel:[0,0,1] op_sel_hi:[1,1,0] neg_lo:[0,1,0] neg_hi:[0,1,0]
	v_mul_f16_sdwa v39, v15, v66 dst_sel:DWORD dst_unused:UNUSED_PAD src0_sel:WORD_1 src1_sel:DWORD
	v_pk_fma_f16 v38, 0xbb7bba95, v14, v23 op_sel:[0,0,1] op_sel_hi:[1,1,0]
	v_fma_f16 v23, v46, 0xb5ac, -v45
	v_pk_add_f16 v20, v8, v3 neg_lo:[0,1] neg_hi:[0,1]
	v_mov_b32_e32 v64, 0xbb7b
	v_lshrrev_b32_e32 v50, 16, v19
	v_mul_f16_e32 v48, 0xb3a8, v15
	v_pk_add_f16 v22, v3, v8
	v_fmamk_f16 v25, v19, 0x2fb7, v39
	v_mul_f16_sdwa v40, v20, v64 dst_sel:DWORD dst_unused:UNUSED_PAD src0_sel:WORD_1 src1_sel:DWORD
	v_add_f16_e32 v21, v23, v21
	v_fma_f16 v26, v50, 0xbbc4, -v48
	v_lshrrev_b32_e32 v52, 16, v22
	v_mul_f16_e32 v49, 0x394e, v20
	v_pk_add_f16 v23, v9, v2 neg_lo:[0,1] neg_hi:[0,1]
	v_mov_b32_e32 v65, 0xb94e
	v_add_f16_e32 v25, v25, v24
	v_fmamk_f16 v35, v22, 0xb5ac, v40
	v_pk_add_f16 v24, v2, v9
	v_add_f16_e32 v21, v26, v21
	v_fma_f16 v36, v52, 0xb9fd, -v49
	v_mul_f16_sdwa v41, v23, v65 dst_sel:DWORD dst_unused:UNUSED_PAD src0_sel:WORD_1 src1_sel:DWORD
	v_pk_mul_f16 v28, 0x2fb7bbc4, v19
	v_add_f16_e32 v35, v35, v25
	v_add_f16_sdwa v54, v29, v6 dst_sel:DWORD dst_unused:UNUSED_PAD src0_sel:DWORD src1_sel:WORD_1
	v_add_f16_e32 v21, v36, v21
	v_fmamk_f16 v36, v24, 0xb9fd, v41
	v_pk_fma_f16 v51, 0xb3a8bbf1, v15, v28 op_sel:[0,0,1] op_sel_hi:[1,1,0] neg_lo:[0,1,0] neg_hi:[0,1,0]
	v_add_f16_sdwa v55, v30, v6 dst_sel:DWORD dst_unused:UNUSED_PAD src0_sel:WORD_1 src1_sel:DWORD
	v_lshrrev_b32_e32 v56, 16, v24
	v_mul_f16_e32 v47, 0x3bf1, v23
	v_add_f16_e32 v35, v36, v35
	v_add_f16_e32 v36, v32, v54
	v_pk_mul_f16 v57, 0xb5acb9fd, v22
	v_pk_fma_f16 v54, 0xb3a8bbf1, v15, v28 op_sel:[0,0,1] op_sel_hi:[1,1,0]
	v_pk_add_f16 v25, v4, v5 neg_lo:[0,1] neg_hi:[0,1]
	v_mov_b32_e32 v67, 0xb3a8
	v_add_f16_e32 v28, v51, v36
	v_add_f16_sdwa v36, v38, v55 dst_sel:DWORD dst_unused:UNUSED_PAD src0_sel:WORD_1 src1_sel:DWORD
	v_pk_add_f16 v26, v5, v4
	v_fma_f16 v37, v56, 0x2fb7, -v47
	v_pk_fma_f16 v55, 0x394ebb7b, v20, v57 op_sel:[0,0,1] op_sel_hi:[1,1,0] neg_lo:[0,1,0] neg_hi:[0,1,0]
	v_pk_mul_f16 v60, 0xb9fd2fb7, v24
	v_pk_fma_f16 v57, 0x394ebb7b, v20, v57 op_sel:[0,0,1] op_sel_hi:[1,1,0]
	v_add_f16_sdwa v36, v54, v36 dst_sel:DWORD dst_unused:UNUSED_PAD src0_sel:WORD_1 src1_sel:DWORD
	v_mul_f16_sdwa v43, v25, v67 dst_sel:DWORD dst_unused:UNUSED_PAD src0_sel:WORD_1 src1_sel:DWORD
	v_lshrrev_b32_e32 v58, 16, v26
	v_mul_f16_e32 v53, 0x3770, v25
	v_add_f16_e32 v21, v37, v21
	v_add_f16_e32 v28, v55, v28
	v_pk_fma_f16 v59, 0x3bf1b94e, v23, v60 op_sel:[0,0,1] op_sel_hi:[1,1,0] neg_lo:[0,1,0] neg_hi:[0,1,0]
	v_pk_mul_f16 v37, 0xbbc43b15, v26
	v_pk_fma_f16 v60, 0x3bf1b94e, v23, v60 op_sel:[0,0,1] op_sel_hi:[1,1,0]
	v_add_f16_sdwa v36, v57, v36 dst_sel:DWORD dst_unused:UNUSED_PAD src0_sel:WORD_1 src1_sel:DWORD
	v_fmamk_f16 v68, v26, 0xbbc4, v43
	v_fma_f16 v69, v58, 0x3b15, -v53
	v_add_f16_e32 v70, v59, v28
	v_pk_fma_f16 v61, 0x3770b3a8, v25, v37 op_sel:[0,0,1] op_sel_hi:[1,1,0] neg_lo:[0,1,0] neg_hi:[0,1,0]
	v_pk_fma_f16 v62, 0x3770b3a8, v25, v37 op_sel:[0,0,1] op_sel_hi:[1,1,0]
	v_add_f16_sdwa v71, v60, v36 dst_sel:DWORD dst_unused:UNUSED_PAD src0_sel:WORD_1 src1_sel:DWORD
	v_add_f16_e32 v36, v68, v35
	v_add_f16_e32 v28, v69, v21
	;; [unrolled: 1-line block ×3, first 2 shown]
	v_mul_lo_u16 v35, v34, 13
	v_add_f16_sdwa v21, v62, v71 dst_sel:DWORD dst_unused:UNUSED_PAD src0_sel:WORD_1 src1_sel:DWORD
	s_barrier
	buffer_gl0_inv
	s_and_saveexec_b32 s4, vcc_lo
	s_cbranch_execz .LBB0_7
; %bb.6:
	v_mul_f16_e32 v68, 0x2fb7, v44
	v_mul_f16_sdwa v69, v13, v66 dst_sel:DWORD dst_unused:UNUSED_PAD src0_sel:WORD_1 src1_sel:DWORD
	v_mul_f16_e32 v70, 0xbbc4, v46
	v_mul_f16_e32 v71, 0xb5ac, v50
	v_mul_f16_sdwa v67, v14, v67 dst_sel:DWORD dst_unused:UNUSED_PAD src0_sel:WORD_1 src1_sel:DWORD
	v_fmamk_f16 v72, v13, 0x3bf1, v68
	v_mov_b32_e32 v73, 0x3b7b
	v_fmamk_f16 v74, v16, 0x2fb7, v69
	v_fmamk_f16 v76, v14, 0x33a8, v70
	v_mul_f16_e32 v75, 0x3b15, v52
	v_add_f16_sdwa v72, v72, v6 dst_sel:DWORD dst_unused:UNUSED_PAD src0_sel:DWORD src1_sel:WORD_1
	v_fmamk_f16 v77, v18, 0xbbc4, v67
	v_add_f16_e32 v74, v74, v6
	v_mul_f16_sdwa v73, v15, v73 dst_sel:DWORD dst_unused:UNUSED_PAD src0_sel:WORD_1 src1_sel:DWORD
	v_mov_b32_e32 v78, 0x3770
	v_add_f16_e32 v72, v76, v72
	v_fmamk_f16 v76, v15, 0xbb7b, v71
	v_add_f16_e32 v74, v77, v74
	v_fmamk_f16 v77, v19, 0xb5ac, v73
	v_mul_f16_sdwa v79, v20, v78 dst_sel:DWORD dst_unused:UNUSED_PAD src0_sel:WORD_1 src1_sel:DWORD
	v_fmamk_f16 v80, v20, 0xb770, v75
	v_add_f16_e32 v72, v76, v72
	v_mul_f16_e32 v76, 0xb5ac, v44
	v_add_f16_e32 v74, v77, v74
	v_fmamk_f16 v81, v22, 0x3b15, v79
	v_mul_f16_e32 v83, 0xb9fd, v46
	v_add_f16_e32 v72, v80, v72
	v_mul_f16_sdwa v80, v23, v63 dst_sel:DWORD dst_unused:UNUSED_PAD src0_sel:WORD_1 src1_sel:DWORD
	v_fmamk_f16 v82, v13, 0x3b7b, v76
	v_add_f16_e32 v74, v81, v74
	v_fmamk_f16 v85, v14, 0xb94e, v83
	v_mul_f16_e32 v86, 0x3b15, v50
	v_fmamk_f16 v84, v24, 0x388b, v80
	v_add_f16_sdwa v82, v82, v6 dst_sel:DWORD dst_unused:UNUSED_PAD src0_sel:DWORD src1_sel:WORD_1
	v_mul_f16_sdwa v88, v13, v64 dst_sel:DWORD dst_unused:UNUSED_PAD src0_sel:WORD_1 src1_sel:DWORD
	v_mov_b32_e32 v89, 0x394e
	v_mul_f16_e32 v77, 0x388b, v56
	v_add_f16_e32 v74, v84, v74
	v_add_f16_e32 v82, v85, v82
	v_fmamk_f16 v84, v15, 0xb770, v86
	v_mul_f16_e32 v85, 0x2fb7, v52
	v_mul_f16_e32 v90, 0xbbc4, v56
	v_fmamk_f16 v91, v16, 0xb5ac, v88
	v_mul_f16_sdwa v89, v14, v89 dst_sel:DWORD dst_unused:UNUSED_PAD src0_sel:WORD_1 src1_sel:DWORD
	v_add_f16_e32 v82, v84, v82
	v_fmamk_f16 v84, v20, 0x3bf1, v85
	v_fmamk_f16 v81, v23, 0x3a95, v77
	v_add_f16_e32 v91, v91, v6
	v_fmamk_f16 v93, v18, 0xb9fd, v89
	v_mul_f16_sdwa v94, v15, v78 dst_sel:DWORD dst_unused:UNUSED_PAD src0_sel:WORD_1 src1_sel:DWORD
	v_add_f16_e32 v82, v84, v82
	v_fmamk_f16 v84, v23, 0xb3a8, v90
	v_add_f16_e32 v72, v81, v72
	v_mul_f16_e32 v81, 0xb9fd, v58
	v_mul_f16_sdwa v66, v20, v66 dst_sel:DWORD dst_unused:UNUSED_PAD src0_sel:WORD_1 src1_sel:DWORD
	v_mul_f16_e32 v95, 0xb9fd, v44
	v_add_f16_e32 v82, v84, v82
	v_add_f16_e32 v84, v93, v91
	v_fmamk_f16 v91, v19, 0x3b15, v94
	v_mov_b32_e32 v93, 0x33a8
	v_fmamk_f16 v87, v25, 0x394e, v81
	v_mul_f16_sdwa v92, v25, v65 dst_sel:DWORD dst_unused:UNUSED_PAD src0_sel:WORD_1 src1_sel:DWORD
	v_fmamk_f16 v98, v13, 0x394e, v95
	v_add_f16_e32 v84, v91, v84
	v_fmamk_f16 v91, v22, 0x2fb7, v66
	v_mul_f16_sdwa v97, v23, v93 dst_sel:DWORD dst_unused:UNUSED_PAD src0_sel:WORD_1 src1_sel:DWORD
	v_mul_f16_e32 v99, 0x2fb7, v46
	v_add_f16_e32 v72, v87, v72
	v_fmamk_f16 v87, v26, 0xb9fd, v92
	v_add_f16_e32 v84, v91, v84
	v_fmamk_f16 v91, v24, 0xbbc4, v97
	v_add_f16_sdwa v98, v98, v6 dst_sel:DWORD dst_unused:UNUSED_PAD src0_sel:DWORD src1_sel:WORD_1
	v_fmamk_f16 v101, v14, 0xbbf1, v99
	v_mul_f16_e32 v102, 0x388b, v50
	v_add_f16_e32 v74, v87, v74
	v_add_f16_e32 v84, v91, v84
	v_mul_f16_sdwa v65, v13, v65 dst_sel:DWORD dst_unused:UNUSED_PAD src0_sel:WORD_1 src1_sel:DWORD
	v_add_f16_e32 v87, v101, v98
	v_fmamk_f16 v91, v15, 0x3a95, v102
	v_mul_f16_e32 v98, 0xbbc4, v52
	v_mov_b32_e32 v101, 0x3bf1
	v_fmac_f16_e32 v95, 0xb94e, v13
	v_mul_f16_e32 v103, 0x3b15, v56
	v_add_f16_e32 v87, v91, v87
	v_fmamk_f16 v91, v20, 0xb3a8, v98
	v_fmamk_f16 v104, v16, 0xb9fd, v65
	v_mul_f16_sdwa v101, v14, v101 dst_sel:DWORD dst_unused:UNUSED_PAD src0_sel:WORD_1 src1_sel:DWORD
	v_add_f16_sdwa v95, v95, v6 dst_sel:DWORD dst_unused:UNUSED_PAD src0_sel:DWORD src1_sel:WORD_1
	v_fmac_f16_e32 v99, 0x3bf1, v14
	v_fma_f16 v65, v16, 0xb9fd, -v65
	v_add_f16_e32 v87, v91, v87
	v_fmamk_f16 v91, v23, 0xb770, v103
	v_add_f16_e32 v104, v104, v6
	v_fmamk_f16 v105, v18, 0x2fb7, v101
	v_mul_f16_sdwa v63, v15, v63 dst_sel:DWORD dst_unused:UNUSED_PAD src0_sel:WORD_1 src1_sel:DWORD
	v_add_f16_e32 v95, v99, v95
	v_add_f16_e32 v65, v65, v6
	v_fma_f16 v99, v18, 0x2fb7, -v101
	v_add_f16_e32 v87, v91, v87
	v_add_f16_e32 v91, v105, v104
	v_fmamk_f16 v104, v19, 0x388b, v63
	v_mul_f16_sdwa v93, v20, v93 dst_sel:DWORD dst_unused:UNUSED_PAD src0_sel:WORD_1 src1_sel:DWORD
	v_add_f16_e32 v65, v99, v65
	v_fma_f16 v63, v19, 0x388b, -v63
	v_fmac_f16_e32 v76, 0xbb7b, v13
	v_mul_f16_sdwa v78, v23, v78 dst_sel:DWORD dst_unused:UNUSED_PAD src0_sel:WORD_1 src1_sel:DWORD
	v_fmac_f16_e32 v83, 0x394e, v14
	v_mul_f16_sdwa v64, v25, v64 dst_sel:DWORD dst_unused:UNUSED_PAD src0_sel:WORD_1 src1_sel:DWORD
	v_add_f16_e32 v63, v63, v65
	v_fma_f16 v65, v22, 0xbbc4, -v93
	v_add_f16_sdwa v76, v76, v6 dst_sel:DWORD dst_unused:UNUSED_PAD src0_sel:DWORD src1_sel:WORD_1
	v_fmac_f16_e32 v86, 0x3770, v15
	v_fma_f16 v69, v16, 0x2fb7, -v69
	v_mul_f16_e32 v46, 0xb5ac, v46
	v_add_f16_e32 v63, v65, v63
	v_fma_f16 v65, v24, 0x3b15, -v78
	v_add_f16_e32 v76, v83, v76
	v_fma_f16 v83, v16, 0xb5ac, -v88
	v_mul_f16_e32 v96, 0x388b, v58
	v_fmamk_f16 v101, v26, 0xb5ac, v64
	v_add_f16_e32 v63, v65, v63
	v_fma_f16 v64, v26, 0xb5ac, -v64
	v_add_f16_e32 v65, v86, v76
	v_fmac_f16_e32 v85, 0xbbf1, v20
	v_add_f16_e32 v76, v83, v6
	v_fma_f16 v83, v18, 0xb9fd, -v89
	v_fmac_f16_e32 v68, 0xbbf1, v13
	v_add_f16_e32 v69, v69, v6
	v_fma_f16 v67, v18, 0xbbc4, -v67
	v_add_f16_e32 v45, v45, v46
	v_alignbit_b32 v46, v6, v6, 16
	v_fmamk_f16 v100, v25, 0xba95, v96
	v_add_f16_e32 v63, v64, v63
	v_add_f16_e32 v64, v85, v65
	v_add_f16_e32 v65, v83, v76
	v_fma_f16 v76, v19, 0x3b15, -v94
	v_add_f16_sdwa v68, v68, v6 dst_sel:DWORD dst_unused:UNUSED_PAD src0_sel:DWORD src1_sel:WORD_1
	v_fmac_f16_e32 v70, 0xb3a8, v14
	v_add_f16_e32 v67, v67, v69
	v_mul_f16_e32 v44, 0x388b, v44
	v_fma_f16 v69, v19, 0xb5ac, -v73
	v_pk_add_f16 v7, v7, v46 op_sel:[0,1] op_sel_hi:[1,0]
	v_add_f16_e32 v82, v100, v82
	v_mov_b32_e32 v100, 0x3a95
	v_add_f16_e32 v65, v76, v65
	v_fma_f16 v66, v22, 0x2fb7, -v66
	v_add_f16_e32 v68, v70, v68
	v_fmac_f16_e32 v71, 0x3b7b, v15
	v_add_f16_e32 v42, v42, v44
	v_add_f16_e32 v44, v69, v67
	v_fma_f16 v67, v22, 0x3b15, -v79
	v_pk_add_f16 v7, v10, v7
	v_mul_f16_sdwa v100, v25, v100 dst_sel:DWORD dst_unused:UNUSED_PAD src0_sel:WORD_1 src1_sel:DWORD
	v_add_f16_e32 v65, v66, v65
	v_fma_f16 v66, v24, 0xbbc4, -v97
	v_add_f16_e32 v68, v71, v68
	v_fmac_f16_e32 v75, 0x3770, v20
	v_add_f16_sdwa v42, v42, v6 dst_sel:DWORD dst_unused:UNUSED_PAD src0_sel:DWORD src1_sel:WORD_1
	v_add_f16_e32 v44, v67, v44
	v_mul_f16_e32 v67, 0x3b15, v16
	v_pk_add_f16 v7, v11, v7
	v_add_f16_e32 v65, v66, v65
	v_fma_f16 v66, v26, 0x388b, -v100
	v_add_f16_e32 v68, v75, v68
	v_fmac_f16_e32 v77, 0xba95, v23
	v_mul_f16_e32 v50, 0xbbc4, v50
	v_add_f16_e32 v42, v45, v42
	v_mul_f16_e32 v45, 0x388b, v18
	v_sub_f16_e32 v31, v67, v31
	v_pk_add_f16 v7, v8, v7
	v_add_f16_e32 v65, v66, v65
	v_add_f16_e32 v66, v77, v68
	v_fma_f16 v68, v24, 0x388b, -v80
	v_add_f16_e32 v48, v48, v50
	v_mul_f16_e32 v50, 0x2fb7, v19
	v_add_f16_e32 v6, v31, v6
	v_sub_f16_e32 v27, v45, v27
	v_pk_add_f16 v7, v9, v7
	v_add_f16_e32 v44, v68, v44
	v_mul_f16_e32 v68, 0xb5ac, v22
	v_sub_f16_e32 v8, v50, v39
	v_add_f16_e32 v6, v27, v6
	v_pk_add_f16 v4, v4, v7
	v_mul_f16_e32 v52, 0xb9fd, v52
	v_add_f16_e32 v42, v48, v42
	v_mul_f16_e32 v48, 0xb9fd, v24
	v_add_f16_e32 v6, v8, v6
	v_sub_f16_e32 v8, v68, v40
	v_pk_add_f16 v4, v5, v4
	v_add_f16_e32 v49, v49, v52
	v_mul_f16_e32 v52, 0xbbc4, v26
	v_bfi_b32 v9, 0xffff, v30, v29
	v_add_f16_e32 v6, v8, v6
	v_sub_f16_e32 v8, v48, v41
	v_pk_add_f16 v2, v2, v4
	v_bfi_b32 v29, 0xffff, v38, v32
	v_mov_b32_e32 v4, 2
	v_pk_add_f16 v9, v9, v46
	v_add_f16_e32 v6, v8, v6
	v_sub_f16_e32 v8, v52, v43
	v_pk_mul_f16 v16, 0xbbc4, v16 op_sel_hi:[0,1]
	v_pk_add_f16 v2, v3, v2
	v_bfi_b32 v7, 0xffff, v54, v51
	v_lshlrev_b32_sdwa v3, v4, v35 dst_sel:DWORD dst_unused:UNUSED_PAD src0_sel:DWORD src1_sel:WORD_0
	v_add_f16_e32 v6, v8, v6
	v_pk_add_f16 v4, v29, v9
	v_pk_fma_f16 v8, 0xb3a8, v13, v16 op_sel:[0,0,1] op_sel_hi:[0,1,0] neg_lo:[0,1,0] neg_hi:[0,1,0]
	v_pk_mul_f16 v9, 0x3b15, v18 op_sel_hi:[0,1]
	v_pk_add_f16 v0, v0, v2
	v_pk_fma_f16 v2, 0xb3a8, v13, v16 op_sel:[0,0,1] op_sel_hi:[0,1,0]
	v_mul_f16_e32 v56, 0x2fb7, v56
	v_bfi_b32 v30, 0xffff, v57, v55
	v_pk_add_f16 v4, v7, v4
	v_pk_add_f16 v7, v8, v46
	v_pk_fma_f16 v8, 0x3770, v14, v9 op_sel:[0,0,1] op_sel_hi:[0,1,0] neg_lo:[0,1,0] neg_hi:[0,1,0]
	v_pk_mul_f16 v13, 0xb9fd, v19 op_sel_hi:[0,1]
	v_pk_add_f16 v2, v2, v46
	v_pk_fma_f16 v9, 0x3770, v14, v9 op_sel:[0,0,1] op_sel_hi:[0,1,0]
	v_mul_f16_e32 v107, 0xb5ac, v58
	v_fmac_f16_e32 v102, 0xba95, v15
	v_mul_f16_e32 v58, 0x3b15, v58
	v_add_f16_e32 v10, v49, v42
	v_add_f16_e32 v42, v47, v56
	v_bfi_b32 v5, 0xffff, v60, v59
	v_pk_add_f16 v4, v30, v4
	v_pk_add_f16 v7, v8, v7
	v_pk_fma_f16 v8, 0xb94e, v15, v13 op_sel:[0,0,1] op_sel_hi:[0,1,0] neg_lo:[0,1,0] neg_hi:[0,1,0]
	v_pk_mul_f16 v14, 0x388b, v22 op_sel_hi:[0,1]
	v_pk_add_f16 v2, v9, v2
	v_pk_fma_f16 v9, 0xb94e, v15, v13 op_sel:[0,0,1] op_sel_hi:[0,1,0]
	v_add_f16_e32 v95, v102, v95
	v_fmac_f16_e32 v98, 0x33a8, v20
	v_add_f16_e32 v10, v42, v10
	v_add_f16_e32 v31, v53, v58
	v_fmac_f16_e32 v90, 0x33a8, v23
	v_pk_add_f16 v4, v5, v4
	v_pk_add_f16 v5, v8, v7
	v_pk_fma_f16 v7, 0x3a95, v20, v14 op_sel:[0,0,1] op_sel_hi:[0,1,0] neg_lo:[0,1,0] neg_hi:[0,1,0]
	v_pk_mul_f16 v8, 0xb5ac, v24 op_sel_hi:[0,1]
	v_pk_add_f16 v2, v9, v2
	v_pk_fma_f16 v9, 0x3a95, v20, v14 op_sel:[0,0,1] op_sel_hi:[0,1,0]
	v_add_f16_e32 v91, v104, v91
	v_fmamk_f16 v104, v22, 0xbbc4, v93
	v_add_f16_e32 v95, v98, v95
	v_fmac_f16_e32 v103, 0x3770, v23
	v_add_f16_e32 v10, v31, v10
	v_bfi_b32 v31, 0xffff, v62, v61
	v_add_f16_e32 v64, v90, v64
	v_fmac_f16_e32 v96, 0x3a95, v25
	v_fmac_f16_e32 v81, 0xb94e, v25
	v_fma_f16 v11, v26, 0xb9fd, -v92
	v_pk_add_f16 v5, v7, v5
	v_pk_fma_f16 v7, 0xbb7b, v23, v8 op_sel:[0,0,1] op_sel_hi:[0,1,0] neg_lo:[0,1,0] neg_hi:[0,1,0]
	v_pk_mul_f16 v13, 0x2fb7, v26 op_sel_hi:[0,1]
	v_pk_add_f16 v2, v9, v2
	v_pk_fma_f16 v8, 0xbb7b, v23, v8 op_sel:[0,0,1] op_sel_hi:[0,1,0]
	v_add_f16_e32 v91, v104, v91
	v_fmamk_f16 v104, v24, 0x3b15, v78
	v_fmamk_f16 v105, v25, 0x3b7b, v107
	v_add_f16_e32 v93, v103, v95
	v_fmac_f16_e32 v107, 0xbb7b, v25
	v_pk_add_f16 v4, v31, v4
	v_add_f16_e32 v64, v96, v64
	v_add_f16_e32 v27, v81, v66
	;; [unrolled: 1-line block ×3, first 2 shown]
	v_pk_add_f16 v5, v7, v5
	v_pk_fma_f16 v7, 0x3bf1, v25, v13 op_sel:[0,0,1] op_sel_hi:[0,1,0] neg_lo:[0,1,0] neg_hi:[0,1,0]
	v_pk_add_f16 v2, v8, v2
	v_pk_fma_f16 v8, 0x3bf1, v25, v13 op_sel:[0,0,1] op_sel_hi:[0,1,0]
	v_fmamk_f16 v106, v26, 0x388b, v100
	v_add_f16_e32 v91, v104, v91
	v_add_f16_e32 v78, v107, v93
	v_pk_add_f16 v0, v1, v0
	v_alignbit_b32 v1, v10, v4, 16
	v_pack_b32_f16 v4, v6, v4
	v_pack_b32_f16 v6, v65, v64
	;; [unrolled: 1-line block ×3, first 2 shown]
	v_pk_add_f16 v5, v7, v5
	v_pk_add_f16 v2, v8, v2
	v_add_f16_e32 v84, v106, v84
	v_add_f16_e32 v87, v105, v87
	;; [unrolled: 1-line block ×3, first 2 shown]
	v_pk_add_f16 v0, v12, v0
	ds_write2_b32 v3, v4, v1 offset0:1 offset1:2
	ds_write2_b32 v3, v9, v6 offset0:3 offset1:4
	v_pack_b32_f16 v1, v63, v78
	v_alignbit_b32 v4, v5, v2, 16
	v_alignbit_b32 v2, v2, v5, 16
	v_pack_b32_f16 v5, v84, v82
	v_pack_b32_f16 v6, v91, v87
	;; [unrolled: 1-line block ×3, first 2 shown]
	v_perm_b32 v8, v28, v21, 0x5040100
	v_perm_b32 v9, v37, v36, 0x5040100
	ds_write2_b32 v3, v0, v1 offset1:5
	ds_write2_b32 v3, v2, v4 offset0:6 offset1:7
	ds_write2_b32 v3, v6, v5 offset0:8 offset1:9
	;; [unrolled: 1-line block ×3, first 2 shown]
	ds_write_b32 v3, v9 offset:48
.LBB0_7:
	s_or_b32 exec_lo, exec_lo, s4
	v_and_b32_e32 v0, 0xff, v34
	s_load_dwordx4 s[4:7], s[0:1], 0x0
	s_waitcnt lgkmcnt(0)
	s_barrier
	buffer_gl0_inv
	v_mul_lo_u16 v0, 0x4f, v0
	v_add_nc_u32_e32 v10, 0x200, v33
	v_add_nc_u32_e32 v39, 0x400, v33
	v_mov_b32_e32 v25, 0x8f
	v_cmp_gt_u16_e64 s0, 39, v34
	v_lshrrev_b16 v20, 10, v0
	v_mul_lo_u16 v0, v20, 13
	v_mul_u32_u24_sdwa v20, v20, v25 dst_sel:DWORD dst_unused:UNUSED_PAD src0_sel:WORD_0 src1_sel:DWORD
	v_sub_nc_u16 v0, v34, v0
	v_and_b32_e32 v24, 0xff, v0
	v_mul_u32_u24_e32 v0, 10, v24
	v_add_lshl_u32 v38, v20, v24, 2
	v_lshlrev_b32_e32 v8, 2, v0
	s_clause 0x2
	global_load_dwordx4 v[4:7], v8, s[2:3]
	global_load_dwordx4 v[0:3], v8, s[2:3] offset:16
	global_load_dwordx2 v[18:19], v8, s[2:3] offset:32
	ds_read2_b32 v[8:9], v33 offset1:52
	ds_read2_b32 v[22:23], v33 offset0:104 offset1:156
	ds_read_b32 v16, v33 offset:2080
	ds_read2_b32 v[14:15], v10 offset0:80 offset1:132
	ds_read2_b32 v[12:13], v39 offset0:56 offset1:108
	;; [unrolled: 1-line block ×3, first 2 shown]
	s_waitcnt vmcnt(0) lgkmcnt(0)
	s_barrier
	buffer_gl0_inv
	v_lshrrev_b32_e32 v29, 16, v16
	v_lshrrev_b32_e32 v25, 16, v9
	;; [unrolled: 1-line block ×10, first 2 shown]
	v_mul_f16_sdwa v20, v25, v4 dst_sel:DWORD dst_unused:UNUSED_PAD src0_sel:DWORD src1_sel:WORD_1
	v_mul_f16_sdwa v24, v9, v4 dst_sel:DWORD dst_unused:UNUSED_PAD src0_sel:DWORD src1_sel:WORD_1
	;; [unrolled: 1-line block ×8, first 2 shown]
	v_fma_f16 v9, v9, v4, -v20
	v_fmac_f16_e32 v24, v25, v4
	v_mul_f16_sdwa v46, v23, v6 dst_sel:DWORD dst_unused:UNUSED_PAD src0_sel:DWORD src1_sel:WORD_1
	v_mul_f16_sdwa v47, v30, v7 dst_sel:DWORD dst_unused:UNUSED_PAD src0_sel:DWORD src1_sel:WORD_1
	;; [unrolled: 1-line block ×12, first 2 shown]
	v_fma_f16 v20, v22, v5, -v43
	v_fmac_f16_e32 v44, v26, v5
	v_fma_f16 v22, v23, v6, -v45
	v_fma_f16 v11, v11, v18, -v57
	;; [unrolled: 1-line block ×3, first 2 shown]
	v_fmac_f16_e32 v60, v29, v19
	v_add_f16_e32 v23, v8, v9
	v_add_f16_sdwa v25, v8, v24 dst_sel:DWORD dst_unused:UNUSED_PAD src0_sel:WORD_1 src1_sel:DWORD
	v_fmac_f16_e32 v46, v27, v6
	v_fma_f16 v14, v14, v7, -v47
	v_fmac_f16_e32 v48, v30, v7
	v_fma_f16 v15, v15, v0, -v49
	;; [unrolled: 2-line block ×5, first 2 shown]
	v_fmac_f16_e32 v56, v41, v3
	v_fmac_f16_e32 v58, v42, v18
	v_add_f16_e32 v26, v9, v16
	v_add_f16_e32 v27, v24, v60
	v_sub_f16_e32 v9, v9, v16
	v_sub_f16_e32 v24, v24, v60
	v_add_f16_e32 v29, v20, v11
	v_sub_f16_e32 v31, v20, v11
	v_add_f16_e32 v20, v23, v20
	v_add_f16_e32 v23, v25, v44
	;; [unrolled: 1-line block ×3, first 2 shown]
	v_sub_f16_e32 v32, v44, v58
	v_add_f16_e32 v40, v22, v10
	v_sub_f16_e32 v42, v22, v10
	v_sub_f16_e32 v43, v46, v56
	;; [unrolled: 1-line block ×6, first 2 shown]
	v_mul_f16_e32 v25, 0xb853, v24
	v_mul_f16_e32 v44, 0xb853, v9
	;; [unrolled: 1-line block ×10, first 2 shown]
	v_add_f16_e32 v20, v20, v22
	v_add_f16_e32 v22, v23, v46
	;; [unrolled: 1-line block ×7, first 2 shown]
	v_mul_f16_e32 v67, 0xbb47, v32
	v_mul_f16_e32 v68, 0xbb47, v31
	;; [unrolled: 1-line block ×40, first 2 shown]
	v_fma_f16 v23, v26, 0x3abb, -v25
	v_fmamk_f16 v46, v27, 0x3abb, v44
	v_fmac_f16_e32 v25, 0x3abb, v26
	v_fma_f16 v44, v27, 0x3abb, -v44
	v_fma_f16 v99, v26, 0x36a6, -v61
	v_fmamk_f16 v100, v27, 0x36a6, v62
	v_fmac_f16_e32 v61, 0x36a6, v26
	v_fma_f16 v62, v27, 0x36a6, -v62
	;; [unrolled: 4-line block ×5, first 2 shown]
	v_add_f16_e32 v14, v20, v14
	v_add_f16_e32 v20, v22, v48
	v_fma_f16 v26, v29, 0x36a6, -v67
	v_fmamk_f16 v27, v30, 0x36a6, v68
	v_fmac_f16_e32 v67, 0x36a6, v29
	v_fma_f16 v68, v30, 0x36a6, -v68
	v_fma_f16 v107, v29, 0xb93d, -v69
	v_fmamk_f16 v108, v30, 0xb93d, v70
	v_fmac_f16_e32 v69, 0xb93d, v29
	v_fma_f16 v70, v30, 0xb93d, -v70
	;; [unrolled: 4-line block ×10, first 2 shown]
	v_fma_f16 v41, v45, 0xb93d, -v83
	v_fmac_f16_e32 v83, 0xb93d, v45
	v_fma_f16 v42, v45, 0xb08e, -v85
	v_fmac_f16_e32 v85, 0xb08e, v45
	;; [unrolled: 2-line block ×5, first 2 shown]
	v_fmamk_f16 v45, v47, 0xb93d, v84
	v_fma_f16 v84, v47, 0xb93d, -v84
	v_fmamk_f16 v126, v47, 0xb08e, v86
	v_fma_f16 v86, v47, 0xb08e, -v86
	;; [unrolled: 2-line block ×5, first 2 shown]
	v_fma_f16 v49, v55, 0xbbad, -v91
	v_fmac_f16_e32 v91, 0xbbad, v55
	v_fma_f16 v130, v55, 0x3abb, -v92
	v_fmac_f16_e32 v92, 0x3abb, v55
	;; [unrolled: 2-line block ×5, first 2 shown]
	v_fmamk_f16 v55, v59, 0xbbad, v95
	v_fma_f16 v95, v59, 0xbbad, -v95
	v_fmamk_f16 v134, v59, 0x3abb, v96
	v_fma_f16 v96, v59, 0x3abb, -v96
	;; [unrolled: 2-line block ×5, first 2 shown]
	v_add_f16_e32 v23, v8, v23
	v_add_f16_sdwa v46, v8, v46 dst_sel:DWORD dst_unused:UNUSED_PAD src0_sel:WORD_1 src1_sel:DWORD
	v_add_f16_e32 v25, v8, v25
	v_add_f16_sdwa v44, v8, v44 dst_sel:DWORD dst_unused:UNUSED_PAD src0_sel:WORD_1 src1_sel:DWORD
	;; [unrolled: 2-line block ×10, first 2 shown]
	v_add_f16_e32 v9, v14, v15
	v_add_f16_e32 v14, v20, v50
	;; [unrolled: 1-line block ×92, first 2 shown]
	v_pack_b32_f16 v11, v12, v13
	v_pack_b32_f16 v12, v14, v15
	;; [unrolled: 1-line block ×11, first 2 shown]
	ds_write2_b32 v38, v12, v13 offset0:26 offset1:39
	ds_write2_b32 v38, v14, v15 offset0:52 offset1:65
	;; [unrolled: 1-line block ×4, first 2 shown]
	ds_write_b32 v38, v24 offset:520
	ds_write2_b32 v38, v9, v11 offset1:13
	s_waitcnt lgkmcnt(0)
	s_barrier
	buffer_gl0_inv
	ds_read2_b32 v[22:23], v33 offset1:52
	ds_read2_b32 v[24:25], v33 offset0:143 offset1:195
	ds_read2_b32 v[26:27], v39 offset0:30 offset1:82
	;; [unrolled: 1-line block ×3, first 2 shown]
	s_and_saveexec_b32 s1, s0
	s_cbranch_execz .LBB0_9
; %bb.8:
	v_add_nc_u32_e32 v8, 0x600, v33
	ds_read2_b32 v[29:30], v33 offset0:104 offset1:247
	ds_read2_b32 v[20:21], v8 offset0:6 offset1:149
	s_waitcnt lgkmcnt(1)
	v_lshrrev_b32_e32 v44, 16, v29
	v_lshrrev_b32_e32 v43, 16, v30
	s_waitcnt lgkmcnt(0)
	v_lshrrev_b32_e32 v42, 16, v20
	v_lshrrev_b32_e32 v28, 16, v21
.LBB0_9:
	s_or_b32 exec_lo, exec_lo, s1
	v_mad_u64_u32 v[8:9], null, v34, 12, s[2:3]
	s_waitcnt lgkmcnt(2)
	v_lshrrev_b32_e32 v41, 16, v24
	s_waitcnt lgkmcnt(1)
	v_lshrrev_b32_e32 v45, 16, v26
	;; [unrolled: 2-line block ×3, first 2 shown]
	v_lshrrev_b32_e32 v48, 16, v25
	v_lshrrev_b32_e32 v49, 16, v27
	;; [unrolled: 1-line block ×3, first 2 shown]
	s_clause 0x1
	global_load_dwordx3 v[14:16], v[8:9], off offset:520
	global_load_dwordx3 v[11:13], v[8:9], off offset:1144
	v_add_nc_u32_e32 v8, 0x68, v34
	v_subrev_nc_u32_e32 v9, 39, v34
	v_lshrrev_b32_e32 v40, 16, v22
	v_lshrrev_b32_e32 v47, 16, v23
	v_cndmask_b32_e64 v8, v9, v8, s0
	v_mul_i32_i24_e32 v9, 12, v8
	v_mul_hi_i32_i24_e32 v10, 12, v8
	v_add_co_u32 v8, s1, s2, v9
	v_add_co_ci_u32_e64 v9, s1, s3, v10, s1
	global_load_dwordx3 v[8:10], v[8:9], off offset:520
	s_waitcnt vmcnt(2)
	v_mul_f16_sdwa v51, v41, v14 dst_sel:DWORD dst_unused:UNUSED_PAD src0_sel:DWORD src1_sel:WORD_1
	v_mul_f16_sdwa v52, v24, v14 dst_sel:DWORD dst_unused:UNUSED_PAD src0_sel:DWORD src1_sel:WORD_1
	v_mul_f16_sdwa v53, v45, v15 dst_sel:DWORD dst_unused:UNUSED_PAD src0_sel:DWORD src1_sel:WORD_1
	v_mul_f16_sdwa v54, v26, v15 dst_sel:DWORD dst_unused:UNUSED_PAD src0_sel:DWORD src1_sel:WORD_1
	v_mul_f16_sdwa v55, v46, v16 dst_sel:DWORD dst_unused:UNUSED_PAD src0_sel:DWORD src1_sel:WORD_1
	v_mul_f16_sdwa v56, v31, v16 dst_sel:DWORD dst_unused:UNUSED_PAD src0_sel:DWORD src1_sel:WORD_1
	s_waitcnt vmcnt(1)
	v_mul_f16_sdwa v57, v48, v11 dst_sel:DWORD dst_unused:UNUSED_PAD src0_sel:DWORD src1_sel:WORD_1
	v_mul_f16_sdwa v59, v49, v12 dst_sel:DWORD dst_unused:UNUSED_PAD src0_sel:DWORD src1_sel:WORD_1
	;; [unrolled: 1-line block ×6, first 2 shown]
	v_fma_f16 v24, v24, v14, -v51
	v_fmac_f16_e32 v52, v41, v14
	v_fma_f16 v26, v26, v15, -v53
	v_fmac_f16_e32 v54, v45, v15
	;; [unrolled: 2-line block ×3, first 2 shown]
	v_fma_f16 v25, v25, v11, -v57
	v_fma_f16 v27, v27, v12, -v59
	v_fmac_f16_e32 v60, v49, v12
	v_fma_f16 v32, v32, v13, -v61
	v_fmac_f16_e32 v58, v48, v11
	v_fmac_f16_e32 v62, v50, v13
	v_sub_f16_e32 v45, v22, v26
	v_sub_f16_e32 v46, v40, v54
	v_sub_f16_e32 v31, v24, v31
	v_sub_f16_e32 v26, v52, v56
	v_sub_f16_e32 v27, v23, v27
	v_sub_f16_e32 v49, v47, v60
	v_sub_f16_e32 v32, v25, v32
	s_waitcnt vmcnt(0)
	v_mul_f16_sdwa v50, v43, v8 dst_sel:DWORD dst_unused:UNUSED_PAD src0_sel:DWORD src1_sel:WORD_1
	v_mul_f16_sdwa v53, v30, v8 dst_sel:DWORD dst_unused:UNUSED_PAD src0_sel:DWORD src1_sel:WORD_1
	;; [unrolled: 1-line block ×6, first 2 shown]
	v_sub_f16_e32 v48, v58, v62
	v_fma_f16 v57, v22, 2.0, -v45
	v_fma_f16 v59, v40, 2.0, -v46
	;; [unrolled: 1-line block ×4, first 2 shown]
	v_sub_f16_e32 v26, v45, v26
	v_add_f16_e32 v41, v46, v31
	v_fma_f16 v31, v23, 2.0, -v27
	v_fma_f16 v23, v25, 2.0, -v32
	v_add_f16_e32 v40, v49, v32
	v_fma_f16 v30, v30, v8, -v50
	v_fmac_f16_e32 v53, v43, v8
	v_fma_f16 v20, v20, v9, -v51
	v_fmac_f16_e32 v54, v42, v9
	;; [unrolled: 2-line block ×3, first 2 shown]
	v_fma_f16 v60, v47, 2.0, -v49
	v_fma_f16 v58, v58, 2.0, -v48
	v_sub_f16_e32 v24, v27, v48
	v_sub_f16_e32 v25, v57, v22
	v_fma_f16 v22, v45, 2.0, -v26
	v_fma_f16 v48, v46, 2.0, -v41
	v_sub_f16_e32 v23, v31, v23
	v_fma_f16 v45, v49, 2.0, -v40
	v_sub_f16_e32 v20, v29, v20
	v_sub_f16_e32 v49, v44, v54
	;; [unrolled: 1-line block ×6, first 2 shown]
	v_fma_f16 v28, v27, 2.0, -v24
	v_fma_f16 v27, v31, 2.0, -v23
	;; [unrolled: 1-line block ×9, first 2 shown]
	v_sub_f16_e32 v30, v20, v46
	v_add_f16_e32 v44, v49, v32
	v_sub_f16_e32 v29, v31, v29
	v_sub_f16_e32 v46, v50, v53
	v_pack_b32_f16 v53, v21, v42
	v_pack_b32_f16 v59, v27, v51
	v_fma_f16 v32, v20, 2.0, -v30
	v_fma_f16 v31, v31, 2.0, -v29
	;; [unrolled: 1-line block ×4, first 2 shown]
	v_pack_b32_f16 v54, v22, v48
	v_pack_b32_f16 v57, v28, v45
	;; [unrolled: 1-line block ×6, first 2 shown]
	ds_write2_b32 v33, v53, v59 offset1:52
	ds_write2_b32 v33, v54, v57 offset0:143 offset1:195
	ds_write2_b32 v39, v56, v58 offset0:30 offset1:82
	;; [unrolled: 1-line block ×3, first 2 shown]
	s_and_saveexec_b32 s1, s0
	s_cbranch_execz .LBB0_11
; %bb.10:
	v_perm_b32 v20, v50, v31, 0x5040100
	v_perm_b32 v39, v49, v32, 0x5040100
	;; [unrolled: 1-line block ×4, first 2 shown]
	v_add_nc_u32_e32 v54, 0x600, v33
	ds_write2_b32 v33, v20, v39 offset0:104 offset1:247
	ds_write2_b32 v54, v52, v53 offset0:6 offset1:149
.LBB0_11:
	s_or_b32 exec_lo, exec_lo, s1
	s_waitcnt lgkmcnt(0)
	s_barrier
	buffer_gl0_inv
	s_and_saveexec_b32 s2, vcc_lo
	s_cbranch_execz .LBB0_13
; %bb.12:
	v_add_co_u32 v20, s1, s18, v33
	v_add_co_ci_u32_e64 v39, null, s19, 0, s1
	v_add_nc_u32_e32 v74, 0x200, v33
	v_add_co_u32 v52, s1, 0x800, v20
	v_add_co_ci_u32_e64 v53, s1, 0, v39, s1
	v_add_nc_u32_e32 v75, 0x400, v33
	v_add_nc_u32_e32 v76, 0x600, v33
	global_load_dword v56, v[52:53], off offset:240
	v_add_co_u32 v52, s1, 0x8f0, v20
	v_add_co_ci_u32_e64 v53, s1, 0, v39, s1
	v_add_co_u32 v54, s1, 0x1000, v20
	s_clause 0x6
	global_load_dword v64, v[52:53], off offset:176
	global_load_dword v65, v[52:53], off offset:352
	;; [unrolled: 1-line block ×7, first 2 shown]
	v_add_co_ci_u32_e64 v55, s1, 0, v39, s1
	s_clause 0x4
	global_load_dword v20, v[52:53], off offset:1408
	global_load_dword v39, v[52:53], off offset:1584
	;; [unrolled: 1-line block ×5, first 2 shown]
	ds_read_b32 v52, v33
	s_waitcnt lgkmcnt(0)
	v_lshrrev_b32_e32 v53, 16, v52
	s_waitcnt vmcnt(12)
	v_mul_f16_sdwa v54, v53, v56 dst_sel:DWORD dst_unused:UNUSED_PAD src0_sel:DWORD src1_sel:WORD_1
	v_mul_f16_sdwa v55, v52, v56 dst_sel:DWORD dst_unused:UNUSED_PAD src0_sel:DWORD src1_sel:WORD_1
	v_fma_f16 v52, v52, v56, -v54
	v_fmac_f16_e32 v55, v53, v56
	v_pack_b32_f16 v52, v52, v55
	ds_write_b32 v33, v52
	ds_read2_b32 v[52:53], v33 offset0:44 offset1:88
	ds_read2_b32 v[54:55], v33 offset0:132 offset1:176
	ds_read2_b32 v[56:57], v74 offset0:92 offset1:136
	ds_read2_b32 v[58:59], v75 offset0:52 offset1:96
	ds_read2_b32 v[60:61], v75 offset0:140 offset1:184
	ds_read2_b32 v[62:63], v76 offset0:100 offset1:144
	s_waitcnt lgkmcnt(5)
	v_lshrrev_b32_e32 v77, 16, v52
	s_waitcnt vmcnt(11)
	v_mul_f16_sdwa v78, v52, v64 dst_sel:DWORD dst_unused:UNUSED_PAD src0_sel:DWORD src1_sel:WORD_1
	v_lshrrev_b32_e32 v79, 16, v53
	s_waitcnt vmcnt(10)
	v_mul_f16_sdwa v80, v53, v65 dst_sel:DWORD dst_unused:UNUSED_PAD src0_sel:DWORD src1_sel:WORD_1
	s_waitcnt lgkmcnt(4)
	v_lshrrev_b32_e32 v81, 16, v54
	s_waitcnt vmcnt(9)
	v_mul_f16_sdwa v82, v54, v66 dst_sel:DWORD dst_unused:UNUSED_PAD src0_sel:DWORD src1_sel:WORD_1
	v_lshrrev_b32_e32 v83, 16, v55
	s_waitcnt vmcnt(8)
	v_mul_f16_sdwa v84, v55, v67 dst_sel:DWORD dst_unused:UNUSED_PAD src0_sel:DWORD src1_sel:WORD_1
	;; [unrolled: 7-line block ×5, first 2 shown]
	s_waitcnt lgkmcnt(0)
	v_lshrrev_b32_e32 v97, 16, v62
	s_waitcnt vmcnt(0)
	v_mul_f16_sdwa v98, v62, v73 dst_sel:DWORD dst_unused:UNUSED_PAD src0_sel:DWORD src1_sel:WORD_1
	v_lshrrev_b32_e32 v99, 16, v63
	v_mul_f16_sdwa v101, v77, v64 dst_sel:DWORD dst_unused:UNUSED_PAD src0_sel:DWORD src1_sel:WORD_1
	v_fmac_f16_e32 v78, v77, v64
	v_mul_f16_sdwa v77, v79, v65 dst_sel:DWORD dst_unused:UNUSED_PAD src0_sel:DWORD src1_sel:WORD_1
	v_fmac_f16_e32 v80, v79, v65
	;; [unrolled: 2-line block ×9, first 2 shown]
	v_mul_f16_sdwa v93, v95, v71 dst_sel:DWORD dst_unused:UNUSED_PAD src0_sel:DWORD src1_sel:WORD_1
	v_mul_f16_sdwa v100, v63, v72 dst_sel:DWORD dst_unused:UNUSED_PAD src0_sel:DWORD src1_sel:WORD_1
	v_fmac_f16_e32 v96, v95, v71
	v_mul_f16_sdwa v95, v97, v73 dst_sel:DWORD dst_unused:UNUSED_PAD src0_sel:DWORD src1_sel:WORD_1
	v_fmac_f16_e32 v98, v97, v73
	v_mul_f16_sdwa v97, v99, v72 dst_sel:DWORD dst_unused:UNUSED_PAD src0_sel:DWORD src1_sel:WORD_1
	v_fma_f16 v52, v52, v64, -v101
	v_fma_f16 v53, v53, v65, -v77
	;; [unrolled: 1-line block ×10, first 2 shown]
	v_fmac_f16_e32 v100, v99, v72
	v_fma_f16 v60, v62, v73, -v95
	v_fma_f16 v61, v63, v72, -v97
	v_pack_b32_f16 v52, v52, v78
	v_pack_b32_f16 v53, v53, v80
	;; [unrolled: 1-line block ×12, first 2 shown]
	ds_write2_b32 v33, v52, v53 offset0:44 offset1:88
	ds_write2_b32 v33, v54, v55 offset0:132 offset1:176
	;; [unrolled: 1-line block ×6, first 2 shown]
.LBB0_13:
	s_or_b32 exec_lo, exec_lo, s2
	s_waitcnt lgkmcnt(0)
	s_barrier
	buffer_gl0_inv
	s_and_saveexec_b32 s1, vcc_lo
	s_cbranch_execz .LBB0_15
; %bb.14:
	v_add_nc_u32_e32 v20, 0x400, v33
	ds_read2_b32 v[21:22], v33 offset1:44
	ds_read2_b32 v[25:26], v33 offset0:88 offset1:132
	ds_read2_b32 v[27:28], v33 offset0:176 offset1:220
	;; [unrolled: 1-line block ×5, first 2 shown]
	ds_read_b32 v36, v33 offset:2112
	s_waitcnt lgkmcnt(5)
	v_lshrrev_b32_e32 v47, 16, v25
	v_lshrrev_b32_e32 v41, 16, v26
	s_waitcnt lgkmcnt(4)
	v_lshrrev_b32_e32 v51, 16, v27
	v_lshrrev_b32_e32 v42, 16, v21
	v_lshrrev_b32_e32 v48, 16, v22
	v_lshrrev_b32_e32 v45, 16, v28
	s_waitcnt lgkmcnt(3)
	v_lshrrev_b32_e32 v43, 16, v23
	v_lshrrev_b32_e32 v40, 16, v24
	s_waitcnt lgkmcnt(2)
	v_lshrrev_b32_e32 v50, 16, v31
	v_lshrrev_b32_e32 v49, 16, v32
	;; [unrolled: 3-line block ×3, first 2 shown]
	s_waitcnt lgkmcnt(0)
	v_lshrrev_b32_e32 v37, 16, v36
.LBB0_15:
	s_or_b32 exec_lo, exec_lo, s1
	v_sub_f16_e32 v66, v48, v37
	v_add_f16_e32 v71, v37, v48
	v_add_f16_e32 v52, v36, v22
	v_sub_f16_e32 v64, v47, v44
	v_sub_f16_e32 v55, v22, v36
	v_mul_f16_e32 v76, 0xba95, v66
	v_mul_f16_e32 v82, 0x388b, v71
	v_add_f16_e32 v53, v30, v25
	v_add_f16_e32 v73, v44, v47
	v_mul_f16_e32 v78, 0xbb7b, v64
	v_fma_f16 v20, v52, 0x388b, -v76
	v_fmamk_f16 v39, v55, 0xba95, v82
	v_sub_f16_e32 v54, v25, v30
	v_mul_f16_e32 v83, 0xb5ac, v73
	v_sub_f16_e32 v65, v41, v46
	v_add_f16_e32 v20, v21, v20
	v_fma_f16 v57, v53, 0xb5ac, -v78
	v_add_f16_e32 v75, v46, v41
	v_add_f16_e32 v39, v42, v39
	v_fmamk_f16 v58, v54, 0xbb7b, v83
	v_add_f16_e32 v56, v29, v26
	v_mul_f16_e32 v80, 0xb3a8, v65
	v_add_f16_e32 v20, v57, v20
	v_sub_f16_e32 v57, v26, v29
	v_mul_f16_e32 v85, 0xbbc4, v75
	v_sub_f16_e32 v67, v51, v49
	v_add_f16_e32 v39, v58, v39
	v_fma_f16 v60, v56, 0xbbc4, -v80
	v_add_f16_e32 v77, v49, v51
	v_fmamk_f16 v61, v57, 0xb3a8, v85
	v_add_f16_e32 v58, v32, v27
	v_mul_f16_e32 v81, 0x394e, v67
	v_sub_f16_e32 v59, v27, v32
	v_mul_f16_e32 v87, 0xb9fd, v77
	v_add_f16_e32 v20, v60, v20
	v_add_f16_e32 v39, v61, v39
	v_sub_f16_e32 v68, v45, v50
	v_fma_f16 v61, v58, 0xb9fd, -v81
	v_add_f16_e32 v74, v50, v45
	v_fmamk_f16 v62, v59, 0x394e, v87
	v_add_f16_e32 v60, v31, v28
	v_mul_f16_e32 v84, 0x3bf1, v68
	v_add_f16_e32 v20, v61, v20
	v_sub_f16_e32 v61, v28, v31
	v_mul_f16_e32 v88, 0x2fb7, v74
	v_sub_f16_e32 v69, v43, v40
	v_add_f16_e32 v70, v40, v43
	v_add_f16_e32 v39, v62, v39
	v_fma_f16 v72, v60, 0x2fb7, -v84
	v_fmamk_f16 v79, v61, 0x3bf1, v88
	v_add_f16_e32 v62, v24, v23
	v_sub_f16_e32 v63, v23, v24
	v_mul_f16_e32 v86, 0x3770, v69
	v_mul_f16_e32 v90, 0x3b15, v70
	v_add_f16_e32 v20, v72, v20
	v_add_f16_e32 v39, v79, v39
	v_fma_f16 v72, v62, 0x3b15, -v86
	v_fmamk_f16 v79, v63, 0x3770, v90
	s_barrier
	buffer_gl0_inv
	v_add_f16_e32 v20, v72, v20
	v_add_f16_e32 v39, v79, v39
	s_and_saveexec_b32 s1, vcc_lo
	s_cbranch_execz .LBB0_17
; %bb.16:
	v_mul_f16_e32 v92, 0xbbf1, v55
	v_mul_f16_e32 v97, 0xb3a8, v54
	;; [unrolled: 1-line block ×5, first 2 shown]
	v_fmamk_f16 v72, v71, 0x2fb7, v92
	v_fmamk_f16 v79, v73, 0xbbc4, v97
	v_mul_f16_e32 v107, 0xb3a8, v64
	v_fma_f16 v89, v52, 0x2fb7, -v104
	v_mul_f16_e32 v108, 0xba95, v61
	v_add_f16_e32 v72, v42, v72
	v_mul_f16_e32 v110, 0x3b7b, v65
	v_fma_f16 v109, v53, 0xbbc4, -v107
	v_add_f16_e32 v89, v21, v89
	v_mul_f16_e32 v111, 0xb94e, v63
	v_add_f16_e32 v72, v79, v72
	v_fmamk_f16 v79, v75, 0xb5ac, v101
	v_mul_f16_e32 v112, 0x3770, v67
	v_add_f16_e32 v89, v109, v89
	v_fma_f16 v109, v56, 0xb5ac, -v110
	v_mul_f16_e32 v113, 0xbb7b, v55
	v_add_f16_e32 v72, v79, v72
	v_fmamk_f16 v79, v77, 0x3b15, v105
	v_mul_f16_e32 v114, 0xba95, v68
	v_add_f16_e32 v89, v109, v89
	v_fma_f16 v109, v58, 0x3b15, -v112
	;; [unrolled: 6-line block ×3, first 2 shown]
	v_fmamk_f16 v117, v73, 0xb9fd, v115
	v_add_f16_e32 v72, v79, v72
	v_fmamk_f16 v79, v70, 0xb9fd, v111
	v_mul_f16_e32 v118, 0x3770, v57
	v_add_f16_e32 v89, v109, v89
	v_fma_f16 v109, v62, 0xb9fd, -v116
	v_mul_f16_e32 v119, 0xbb7b, v66
	v_add_f16_e32 v72, v79, v72
	v_fmamk_f16 v79, v71, 0xb5ac, v113
	v_fmamk_f16 v120, v75, 0x3b15, v118
	v_mul_f16_e32 v121, 0xbbf1, v59
	v_mul_f16_e32 v122, 0x33a8, v61
	v_mul_f16_e32 v124, 0x3770, v65
	v_add_f16_e32 v79, v42, v79
	v_mul_f16_e32 v125, 0x3a95, v63
	v_mul_f16_e32 v126, 0xbbf1, v67
	;; [unrolled: 1-line block ×4, first 2 shown]
	v_add_f16_e32 v117, v117, v79
	v_add_f16_e32 v79, v109, v89
	v_fma_f16 v89, v52, 0xb5ac, -v119
	v_mul_f16_e32 v109, 0x394e, v64
	v_fma_f16 v128, v58, 0x2fb7, -v126
	v_add_f16_e32 v117, v120, v117
	v_fmamk_f16 v120, v77, 0x2fb7, v121
	v_add_f16_e32 v89, v21, v89
	v_fma_f16 v123, v53, 0xb9fd, -v109
	v_mul_f16_e32 v129, 0x33a8, v68
	v_mul_f16_e32 v94, 0xb5ac, v53
	v_add_f16_e32 v117, v120, v117
	v_fmamk_f16 v120, v74, 0xbbc4, v122
	v_add_f16_e32 v89, v123, v89
	v_fma_f16 v123, v56, 0x3b15, -v124
	v_add_f16_e32 v76, v91, v76
	v_mul_f16_e32 v130, 0x3a95, v69
	v_add_f16_e32 v117, v120, v117
	v_fmamk_f16 v120, v70, 0x388b, v125
	v_add_f16_e32 v123, v123, v89
	v_mul_f16_e32 v132, 0xba95, v57
	v_mul_f16_e32 v96, 0xbbc4, v56
	v_add_f16_e32 v76, v21, v76
	v_add_f16_e32 v89, v120, v117
	v_fmamk_f16 v117, v71, 0xb9fd, v127
	v_mul_f16_e32 v120, 0x3bf1, v54
	v_add_f16_e32 v123, v128, v123
	v_fma_f16 v128, v60, 0xbbc4, -v129
	v_add_f16_e32 v78, v94, v78
	v_add_f16_e32 v117, v42, v117
	v_fmamk_f16 v131, v73, 0x2fb7, v120
	v_mul_f16_e32 v133, 0xb94e, v66
	v_add_f16_e32 v123, v128, v123
	v_fma_f16 v128, v62, 0x388b, -v130
	v_mul_f16_e32 v134, 0x33a8, v59
	v_add_f16_e32 v117, v131, v117
	v_fmamk_f16 v131, v75, 0x388b, v132
	v_mul_f16_e32 v93, 0xba95, v55
	v_mul_f16_e32 v99, 0xb9fd, v58
	v_add_f16_e32 v76, v78, v76
	v_add_f16_e32 v78, v96, v80
	;; [unrolled: 1-line block ×3, first 2 shown]
	v_fma_f16 v128, v52, 0xb9fd, -v133
	v_mul_f16_e32 v135, 0x3bf1, v64
	v_add_f16_e32 v117, v131, v117
	v_fmamk_f16 v131, v77, 0xbbc4, v134
	v_mul_f16_e32 v136, 0x3770, v61
	v_mul_f16_e32 v95, 0xbb7b, v54
	;; [unrolled: 1-line block ×3, first 2 shown]
	v_sub_f16_e32 v82, v82, v93
	v_add_f16_e32 v76, v78, v76
	v_add_f16_e32 v78, v99, v81
	;; [unrolled: 1-line block ×3, first 2 shown]
	v_fma_f16 v137, v53, 0x2fb7, -v135
	v_mul_f16_e32 v138, 0xba95, v65
	v_add_f16_e32 v117, v131, v117
	v_fmamk_f16 v131, v74, 0x3b15, v136
	v_mul_f16_e32 v139, 0xbb7b, v63
	v_mul_f16_e32 v98, 0xb3a8, v57
	v_mul_f16_e32 v106, 0x3b15, v62
	v_add_f16_e32 v82, v42, v82
	v_sub_f16_e32 v83, v83, v95
	v_add_f16_e32 v76, v78, v76
	v_add_f16_e32 v78, v102, v84
	;; [unrolled: 1-line block ×4, first 2 shown]
	v_fma_f16 v137, v56, 0x388b, -v138
	v_mul_f16_e32 v140, 0x33a8, v67
	v_add_f16_e32 v117, v131, v117
	v_fmamk_f16 v131, v70, 0xb5ac, v139
	v_mul_f16_e32 v141, 0xb3a8, v55
	v_mul_f16_e32 v100, 0x394e, v59
	;; [unrolled: 1-line block ×3, first 2 shown]
	v_add_f16_e32 v82, v83, v82
	v_sub_f16_e32 v83, v85, v98
	v_add_f16_e32 v76, v78, v76
	v_add_f16_e32 v78, v106, v86
	v_mul_f16_e32 v66, 0xb770, v66
	v_add_f16_e32 v22, v25, v22
	v_add_f16_e32 v25, v48, v42
	;; [unrolled: 1-line block ×3, first 2 shown]
	v_fma_f16 v137, v58, 0xbbc4, -v140
	v_mul_f16_e32 v142, 0x3770, v68
	v_add_f16_e32 v117, v131, v117
	v_fmamk_f16 v131, v71, 0xbbc4, v141
	v_mul_f16_e32 v143, 0x3770, v54
	v_mul_f16_e32 v103, 0x3bf1, v61
	;; [unrolled: 1-line block ×3, first 2 shown]
	v_fma_f16 v141, v71, 0xbbc4, -v141
	v_fma_f16 v127, v71, 0xb9fd, -v127
	;; [unrolled: 1-line block ×4, first 2 shown]
	v_add_f16_e32 v82, v83, v82
	v_sub_f16_e32 v83, v87, v100
	v_mul_f16_e32 v71, 0x3b15, v71
	v_add_f16_e32 v76, v78, v76
	v_fmamk_f16 v78, v52, 0x3b15, v66
	v_mul_f16_e32 v64, 0xba95, v64
	v_add_f16_e32 v22, v26, v22
	v_add_f16_e32 v25, v47, v25
	;; [unrolled: 1-line block ×3, first 2 shown]
	v_fma_f16 v137, v60, 0x3b15, -v142
	v_mul_f16_e32 v144, 0xbb7b, v69
	v_add_f16_e32 v131, v42, v131
	v_fmamk_f16 v145, v73, 0x3b15, v143
	v_mul_f16_e32 v146, 0xb94e, v57
	v_mul_f16_e32 v152, 0xb94e, v65
	v_add_f16_e32 v141, v42, v141
	v_fma_f16 v143, v73, 0x3b15, -v143
	v_add_f16_e32 v127, v42, v127
	v_fma_f16 v120, v73, 0x2fb7, -v120
	;; [unrolled: 2-line block ×4, first 2 shown]
	v_add_f16_e32 v80, v83, v82
	v_sub_f16_e32 v82, v88, v103
	v_fmamk_f16 v83, v55, 0x3770, v71
	v_mul_f16_e32 v73, 0x388b, v73
	v_add_f16_e32 v78, v21, v78
	v_fmamk_f16 v48, v53, 0x388b, v64
	v_mul_f16_e32 v65, 0xbbf1, v65
	v_add_f16_e32 v22, v27, v22
	v_add_f16_e32 v25, v41, v25
	;; [unrolled: 1-line block ×3, first 2 shown]
	v_fma_f16 v137, v62, 0xb5ac, -v144
	v_add_f16_e32 v131, v145, v131
	v_fmamk_f16 v145, v75, 0xb9fd, v146
	v_mul_f16_e32 v148, 0x3a95, v59
	v_add_f16_e32 v141, v143, v141
	v_fma_f16 v143, v75, 0xb9fd, -v146
	v_add_f16_e32 v120, v120, v127
	v_fma_f16 v127, v75, 0x388b, -v132
	;; [unrolled: 2-line block ×4, first 2 shown]
	v_add_f16_e32 v80, v82, v80
	v_add_f16_e32 v81, v42, v83
	v_fmamk_f16 v82, v54, 0x3a95, v73
	v_mul_f16_e32 v75, 0x2fb7, v75
	v_add_f16_e32 v26, v48, v78
	v_fmamk_f16 v47, v56, 0x2fb7, v65
	v_mul_f16_e32 v48, 0xbb7b, v67
	v_add_f16_e32 v22, v28, v22
	v_add_f16_e32 v25, v51, v25
	;; [unrolled: 1-line block ×3, first 2 shown]
	v_fma_f16 v137, v52, 0xbbc4, -v147
	v_add_f16_e32 v131, v145, v131
	v_fmamk_f16 v145, v77, 0x388b, v148
	v_mul_f16_e32 v150, 0xbb7b, v61
	v_add_f16_e32 v141, v143, v141
	v_fma_f16 v148, v77, 0x388b, -v148
	v_add_f16_e32 v120, v127, v120
	v_fma_f16 v127, v77, 0xbbc4, -v134
	;; [unrolled: 2-line block ×4, first 2 shown]
	v_add_f16_e32 v81, v82, v81
	v_fmamk_f16 v82, v57, 0x3bf1, v75
	v_mul_f16_e32 v77, 0xb5ac, v77
	v_add_f16_e32 v26, v47, v26
	v_fmamk_f16 v41, v58, 0xb5ac, v48
	v_mul_f16_e32 v28, 0xb94e, v68
	v_add_f16_e32 v22, v23, v22
	v_add_f16_e32 v23, v45, v25
	;; [unrolled: 1-line block ×3, first 2 shown]
	v_fma_f16 v151, v53, 0x3b15, -v149
	v_add_f16_e32 v131, v145, v131
	v_fmamk_f16 v145, v74, 0xb5ac, v150
	v_mul_f16_e32 v153, 0x3bf1, v63
	v_add_f16_e32 v141, v148, v141
	v_fma_f16 v148, v74, 0xb5ac, -v150
	v_add_f16_e32 v120, v127, v120
	v_fma_f16 v127, v74, 0x3b15, -v136
	;; [unrolled: 2-line block ×4, first 2 shown]
	v_add_f16_e32 v81, v82, v81
	v_fmamk_f16 v82, v59, 0x3b7b, v77
	v_mul_f16_e32 v74, 0xb9fd, v74
	v_add_f16_e32 v26, v41, v26
	v_fmamk_f16 v25, v60, 0xb9fd, v28
	v_mul_f16_e32 v41, 0xb3a8, v69
	v_add_f16_e32 v23, v43, v23
	v_add_f16_e32 v137, v151, v137
	v_fma_f16 v151, v56, 0xb9fd, -v152
	v_mul_f16_e32 v154, 0x3a95, v67
	v_add_f16_e32 v131, v145, v131
	v_fmamk_f16 v145, v70, 0x2fb7, v153
	v_fmac_f16_e32 v104, 0x2fb7, v52
	v_add_f16_e32 v81, v82, v81
	v_fmamk_f16 v82, v61, 0x394e, v74
	v_mul_f16_e32 v47, 0xbbc4, v70
	v_add_f16_e32 v22, v24, v22
	v_add_f16_e32 v24, v25, v26
	v_fmamk_f16 v25, v62, 0xbbc4, v41
	v_fmac_f16_e32 v133, 0xb9fd, v52
	v_fmac_f16_e32 v119, 0xb5ac, v52
	v_add_f16_e32 v23, v40, v23
	v_add_f16_e32 v137, v151, v137
	v_fma_f16 v151, v58, 0x388b, -v154
	v_add_f16_e32 v131, v145, v131
	v_mul_f16_e32 v145, 0xbb7b, v68
	v_fmac_f16_e32 v147, 0xbbc4, v52
	v_add_f16_e32 v104, v21, v104
	v_fmac_f16_e32 v107, 0xbbc4, v53
	v_add_f16_e32 v27, v82, v81
	v_fmamk_f16 v45, v63, 0x33a8, v47
	v_fmac_f16_e32 v71, 0xb770, v55
	v_add_f16_e32 v24, v25, v24
	v_fma_f16 v25, v52, 0x3b15, -v66
	v_add_f16_e32 v133, v21, v133
	v_fmac_f16_e32 v135, 0x2fb7, v53
	v_add_f16_e32 v119, v21, v119
	v_fmac_f16_e32 v109, 0xb9fd, v53
	v_add_f16_e32 v22, v31, v22
	v_add_f16_e32 v23, v50, v23
	;; [unrolled: 1-line block ×3, first 2 shown]
	v_fma_f16 v146, v60, 0xb5ac, -v145
	v_mul_f16_e32 v151, 0x3bf1, v69
	v_add_f16_e32 v147, v21, v147
	v_fmac_f16_e32 v149, 0x3b15, v53
	v_add_f16_e32 v104, v107, v104
	v_fmac_f16_e32 v110, 0xb5ac, v56
	v_add_f16_e32 v26, v45, v27
	v_add_f16_e32 v27, v42, v71
	v_fmac_f16_e32 v73, 0xba95, v54
	v_add_f16_e32 v21, v21, v25
	v_fma_f16 v25, v53, 0x388b, -v64
	v_add_f16_e32 v133, v135, v133
	v_fmac_f16_e32 v138, 0x388b, v56
	v_add_f16_e32 v109, v109, v119
	v_fmac_f16_e32 v124, 0x3b15, v56
	v_add_f16_e32 v22, v32, v22
	v_add_f16_e32 v23, v49, v23
	;; [unrolled: 1-line block ×3, first 2 shown]
	v_fma_f16 v146, v62, 0x2fb7, -v151
	v_add_f16_e32 v147, v149, v147
	v_fmac_f16_e32 v152, 0xb9fd, v56
	v_add_f16_e32 v93, v110, v104
	v_fmac_f16_e32 v112, 0x3b15, v58
	;; [unrolled: 2-line block ×3, first 2 shown]
	v_add_f16_e32 v21, v25, v21
	v_fma_f16 v25, v56, 0x2fb7, -v65
	v_add_f16_e32 v133, v138, v133
	v_fmac_f16_e32 v140, 0xbbc4, v58
	v_add_f16_e32 v109, v124, v109
	v_fmac_f16_e32 v126, 0x2fb7, v58
	v_add_f16_e32 v22, v29, v22
	v_add_f16_e32 v23, v46, v23
	v_mul_f16_e32 v143, 0x3770, v63
	v_add_f16_e32 v137, v146, v137
	v_add_f16_e32 v146, v152, v147
	v_fmac_f16_e32 v154, 0x388b, v58
	v_add_f16_e32 v93, v112, v93
	v_fmac_f16_e32 v114, 0x388b, v60
	;; [unrolled: 2-line block ×3, first 2 shown]
	v_add_f16_e32 v21, v25, v21
	v_fma_f16 v25, v58, 0xb5ac, -v48
	v_add_f16_e32 v118, v140, v133
	v_fmac_f16_e32 v142, 0x3b15, v60
	v_add_f16_e32 v101, v126, v109
	v_fmac_f16_e32 v129, 0xbbc4, v60
	v_add_f16_e32 v22, v30, v22
	v_add_f16_e32 v23, v44, v23
	;; [unrolled: 1-line block ×3, first 2 shown]
	v_fmac_f16_e32 v145, 0xb5ac, v60
	v_add_f16_e32 v92, v97, v92
	v_fma_f16 v97, v70, 0xb9fd, -v111
	v_add_f16_e32 v85, v114, v93
	v_fmac_f16_e32 v116, 0xb9fd, v62
	v_sub_f16_e32 v83, v90, v143
	v_add_f16_e32 v27, v77, v27
	v_fmac_f16_e32 v74, 0xb94e, v61
	v_add_f16_e32 v21, v25, v21
	v_fma_f16 v25, v60, 0xb9fd, -v28
	v_add_f16_e32 v120, v127, v120
	v_fma_f16 v127, v70, 0xb5ac, -v139
	v_add_f16_e32 v118, v142, v118
	v_fmac_f16_e32 v144, 0xb5ac, v62
	v_add_f16_e32 v113, v115, v113
	v_fma_f16 v115, v70, 0x388b, -v125
	v_add_f16_e32 v101, v129, v101
	v_fmac_f16_e32 v130, 0x388b, v62
	v_add_f16_e32 v22, v36, v22
	v_add_f16_e32 v23, v37, v23
	v_mov_b32_e32 v28, 2
	v_add_f16_e32 v141, v148, v141
	v_fma_f16 v147, v70, 0x2fb7, -v153
	v_add_f16_e32 v132, v145, v146
	v_fmac_f16_e32 v151, 0x2fb7, v62
	v_add_f16_e32 v92, v97, v92
	v_add_f16_e32 v85, v116, v85
	;; [unrolled: 1-line block ×4, first 2 shown]
	v_fmac_f16_e32 v47, 0xb3a8, v63
	v_add_f16_e32 v21, v25, v21
	v_fma_f16 v25, v62, 0xbbc4, -v41
	v_add_f16_e32 v120, v127, v120
	v_add_f16_e32 v118, v144, v118
	;; [unrolled: 1-line block ×3, first 2 shown]
	v_lshlrev_b32_sdwa v28, v28, v35 dst_sel:DWORD dst_unused:UNUSED_PAD src0_sel:DWORD src1_sel:WORD_0
	v_pack_b32_f16 v24, v24, v26
	v_pack_b32_f16 v22, v22, v23
	v_add_f16_e32 v29, v130, v101
	v_add_f16_e32 v141, v147, v141
	v_add_f16_e32 v132, v151, v132
	v_pack_b32_f16 v23, v76, v80
	v_pack_b32_f16 v26, v85, v92
	v_add_f16_e32 v27, v47, v27
	v_add_f16_e32 v21, v25, v21
	ds_write2_b32 v28, v22, v24 offset1:1
	ds_write2_b32 v28, v23, v26 offset0:2 offset1:3
	v_pack_b32_f16 v22, v118, v120
	v_pack_b32_f16 v23, v29, v105
	v_pack_b32_f16 v24, v137, v131
	v_pack_b32_f16 v25, v132, v141
	v_pack_b32_f16 v26, v123, v89
	v_pack_b32_f16 v29, v128, v117
	v_pack_b32_f16 v30, v79, v72
	v_perm_b32 v31, v39, v20, 0x5040100
	v_pack_b32_f16 v21, v21, v27
	ds_write2_b32 v28, v23, v22 offset0:4 offset1:5
	ds_write2_b32 v28, v25, v24 offset0:6 offset1:7
	;; [unrolled: 1-line block ×4, first 2 shown]
	ds_write_b32 v28, v21 offset:48
.LBB0_17:
	s_or_b32 exec_lo, exec_lo, s1
	s_waitcnt lgkmcnt(0)
	s_barrier
	buffer_gl0_inv
	ds_read2_b32 v[21:22], v33 offset1:52
	ds_read2_b32 v[24:25], v33 offset0:104 offset1:156
	v_add_nc_u32_e32 v26, 0x200, v33
	v_add_nc_u32_e32 v23, 0x400, v33
	ds_read_b32 v32, v33 offset:2080
	ds_read2_b32 v[26:27], v26 offset0:80 offset1:132
	ds_read2_b32 v[28:29], v23 offset0:56 offset1:108
	;; [unrolled: 1-line block ×3, first 2 shown]
	s_waitcnt lgkmcnt(0)
	s_barrier
	buffer_gl0_inv
	v_lshrrev_b32_e32 v35, 16, v22
	v_lshrrev_b32_e32 v36, 16, v24
	;; [unrolled: 1-line block ×3, first 2 shown]
	v_mul_f16_sdwa v41, v4, v22 dst_sel:DWORD dst_unused:UNUSED_PAD src0_sel:WORD_1 src1_sel:DWORD
	v_mul_f16_sdwa v42, v5, v24 dst_sel:DWORD dst_unused:UNUSED_PAD src0_sel:WORD_1 src1_sel:DWORD
	;; [unrolled: 1-line block ×4, first 2 shown]
	v_lshrrev_b32_e32 v44, 16, v26
	v_fma_f16 v35, v4, v35, -v41
	v_mul_f16_sdwa v41, v5, v36 dst_sel:DWORD dst_unused:UNUSED_PAD src0_sel:WORD_1 src1_sel:DWORD
	v_fma_f16 v36, v5, v36, -v42
	v_mul_f16_sdwa v42, v6, v37 dst_sel:DWORD dst_unused:UNUSED_PAD src0_sel:WORD_1 src1_sel:DWORD
	v_fmac_f16_e32 v50, v4, v22
	v_lshrrev_b32_e32 v45, 16, v27
	v_fma_f16 v37, v6, v37, -v43
	v_mul_f16_sdwa v43, v7, v44 dst_sel:DWORD dst_unused:UNUSED_PAD src0_sel:WORD_1 src1_sel:DWORD
	v_mul_f16_sdwa v51, v7, v26 dst_sel:DWORD dst_unused:UNUSED_PAD src0_sel:WORD_1 src1_sel:DWORD
	v_fmac_f16_e32 v41, v5, v24
	v_fmac_f16_e32 v42, v6, v25
	v_add_f16_e32 v6, v21, v50
	v_lshrrev_b32_e32 v46, 16, v28
	v_fmac_f16_e32 v43, v7, v26
	v_mul_f16_sdwa v4, v0, v45 dst_sel:DWORD dst_unused:UNUSED_PAD src0_sel:WORD_1 src1_sel:DWORD
	v_fma_f16 v5, v7, v44, -v51
	v_mul_f16_sdwa v7, v0, v27 dst_sel:DWORD dst_unused:UNUSED_PAD src0_sel:WORD_1 src1_sel:DWORD
	v_add_f16_sdwa v24, v21, v35 dst_sel:DWORD dst_unused:UNUSED_PAD src0_sel:WORD_1 src1_sel:DWORD
	v_add_f16_e32 v6, v6, v41
	v_lshrrev_b32_e32 v47, 16, v29
	v_mul_f16_sdwa v22, v1, v46 dst_sel:DWORD dst_unused:UNUSED_PAD src0_sel:WORD_1 src1_sel:DWORD
	v_fmac_f16_e32 v4, v0, v27
	v_fma_f16 v0, v0, v45, -v7
	v_mul_f16_sdwa v7, v1, v28 dst_sel:DWORD dst_unused:UNUSED_PAD src0_sel:WORD_1 src1_sel:DWORD
	v_add_f16_e32 v24, v24, v36
	v_add_f16_e32 v6, v6, v42
	v_lshrrev_b32_e32 v48, 16, v30
	v_fmac_f16_e32 v22, v1, v28
	v_mul_f16_sdwa v25, v2, v47 dst_sel:DWORD dst_unused:UNUSED_PAD src0_sel:WORD_1 src1_sel:DWORD
	v_mul_f16_sdwa v26, v2, v29 dst_sel:DWORD dst_unused:UNUSED_PAD src0_sel:WORD_1 src1_sel:DWORD
	v_fma_f16 v1, v1, v46, -v7
	v_add_f16_e32 v7, v24, v37
	v_add_f16_e32 v6, v6, v43
	v_fmac_f16_e32 v25, v2, v29
	v_fma_f16 v2, v2, v47, -v26
	v_mul_f16_sdwa v24, v3, v48 dst_sel:DWORD dst_unused:UNUSED_PAD src0_sel:WORD_1 src1_sel:DWORD
	v_add_f16_e32 v7, v7, v5
	v_add_f16_e32 v6, v6, v4
	v_mul_f16_sdwa v26, v3, v30 dst_sel:DWORD dst_unused:UNUSED_PAD src0_sel:WORD_1 src1_sel:DWORD
	v_lshrrev_b32_e32 v40, 16, v32
	v_lshrrev_b32_e32 v49, 16, v31
	v_fmac_f16_e32 v24, v3, v30
	v_add_f16_e32 v7, v7, v0
	v_add_f16_e32 v6, v6, v22
	v_fma_f16 v3, v3, v48, -v26
	v_mul_f16_sdwa v26, v19, v32 dst_sel:DWORD dst_unused:UNUSED_PAD src0_sel:WORD_1 src1_sel:DWORD
	v_mul_f16_sdwa v27, v18, v49 dst_sel:DWORD dst_unused:UNUSED_PAD src0_sel:WORD_1 src1_sel:DWORD
	v_add_f16_e32 v7, v7, v1
	v_add_f16_e32 v6, v6, v25
	v_mul_f16_sdwa v28, v18, v31 dst_sel:DWORD dst_unused:UNUSED_PAD src0_sel:WORD_1 src1_sel:DWORD
	v_mul_f16_sdwa v29, v19, v40 dst_sel:DWORD dst_unused:UNUSED_PAD src0_sel:WORD_1 src1_sel:DWORD
	v_fma_f16 v26, v19, v40, -v26
	v_fmac_f16_e32 v27, v18, v31
	v_add_f16_e32 v7, v7, v2
	v_add_f16_e32 v6, v6, v24
	v_fma_f16 v18, v18, v49, -v28
	v_fmac_f16_e32 v29, v19, v32
	v_sub_f16_e32 v19, v35, v26
	v_add_f16_e32 v7, v7, v3
	v_add_f16_e32 v6, v6, v27
	;; [unrolled: 1-line block ×4, first 2 shown]
	v_mul_f16_e32 v31, 0xb853, v19
	v_sub_f16_e32 v56, v36, v18
	v_add_f16_e32 v7, v7, v18
	v_sub_f16_e32 v32, v50, v29
	v_mul_f16_e32 v35, 0x3abb, v28
	v_fmamk_f16 v40, v30, 0x3abb, v31
	v_add_f16_e32 v6, v6, v29
	v_mul_f16_e32 v29, 0xbb47, v19
	v_mul_f16_e32 v45, 0x36a6, v28
	;; [unrolled: 1-line block ×8, first 2 shown]
	v_add_f16_e32 v58, v41, v27
	v_mul_f16_e32 v59, 0xbb47, v56
	v_add_f16_e32 v18, v36, v18
	v_add_f16_e32 v7, v7, v26
	v_fmamk_f16 v26, v32, 0x3853, v35
	v_add_f16_e32 v40, v21, v40
	v_fma_f16 v31, v30, 0x3abb, -v31
	v_fmac_f16_e32 v35, 0xb853, v32
	v_fmamk_f16 v44, v30, 0x36a6, v29
	v_fmamk_f16 v47, v32, 0x3b47, v45
	v_fma_f16 v29, v30, 0x36a6, -v29
	v_fmac_f16_e32 v45, 0xbb47, v32
	v_fmamk_f16 v48, v30, 0xb08e, v46
	v_fmamk_f16 v50, v32, 0x3beb, v49
	;; [unrolled: 4-line block ×4, first 2 shown]
	v_fma_f16 v19, v30, 0xbbad, -v19
	v_fmac_f16_e32 v28, 0xb482, v32
	v_sub_f16_e32 v27, v41, v27
	v_fmamk_f16 v30, v58, 0x36a6, v59
	v_mul_f16_e32 v32, 0x36a6, v18
	v_add_f16_sdwa v26, v21, v26 dst_sel:DWORD dst_unused:UNUSED_PAD src0_sel:WORD_1 src1_sel:DWORD
	v_add_f16_e32 v31, v21, v31
	v_add_f16_sdwa v35, v21, v35 dst_sel:DWORD dst_unused:UNUSED_PAD src0_sel:WORD_1 src1_sel:DWORD
	v_add_f16_e32 v44, v21, v44
	;; [unrolled: 2-line block ×10, first 2 shown]
	v_fmamk_f16 v30, v27, 0x3b47, v32
	v_mul_f16_e32 v40, 0xba0c, v56
	v_fma_f16 v41, v58, 0x36a6, -v59
	v_fmac_f16_e32 v32, 0xbb47, v27
	v_mul_f16_e32 v57, 0xb93d, v18
	v_add_f16_e32 v26, v30, v26
	v_fmamk_f16 v30, v58, 0xb93d, v40
	v_add_f16_e32 v31, v41, v31
	v_add_f16_e32 v32, v32, v35
	v_fmamk_f16 v35, v27, 0x3a0c, v57
	v_mul_f16_e32 v41, 0x3482, v56
	v_add_f16_e32 v30, v30, v44
	v_fma_f16 v40, v58, 0xb93d, -v40
	v_fmac_f16_e32 v57, 0xba0c, v27
	v_add_f16_e32 v35, v35, v47
	v_fmamk_f16 v44, v58, 0xbbad, v41
	v_mul_f16_e32 v47, 0xbbad, v18
	v_add_f16_e32 v29, v40, v29
	v_add_f16_e32 v40, v57, v45
	v_mul_f16_e32 v45, 0x3beb, v56
	v_add_f16_e32 v44, v44, v48
	v_fmamk_f16 v48, v27, 0xb482, v47
	v_fma_f16 v41, v58, 0xbbad, -v41
	v_fmac_f16_e32 v47, 0x3482, v27
	v_mul_f16_e32 v59, 0xb08e, v18
	v_fmamk_f16 v57, v58, 0xb08e, v45
	v_mul_f16_e32 v18, 0x3abb, v18
	v_add_f16_e32 v41, v41, v46
	v_add_f16_e32 v46, v47, v49
	v_fmamk_f16 v49, v27, 0xbbeb, v59
	v_fma_f16 v45, v58, 0xb08e, -v45
	v_fmac_f16_e32 v59, 0x3beb, v27
	v_add_f16_e32 v48, v48, v50
	v_mul_f16_e32 v50, 0x3853, v56
	v_add_f16_e32 v49, v49, v54
	v_fmamk_f16 v54, v27, 0xb853, v18
	v_add_f16_e32 v45, v45, v51
	v_add_f16_e32 v51, v59, v52
	v_sub_f16_e32 v52, v37, v3
	v_add_f16_e32 v3, v37, v3
	v_add_f16_e32 v47, v57, v53
	v_fmamk_f16 v53, v58, 0x3abb, v50
	v_add_f16_e32 v36, v54, v36
	v_add_f16_e32 v54, v42, v24
	v_mul_f16_e32 v37, 0xbbeb, v52
	v_fma_f16 v50, v58, 0x3abb, -v50
	v_fmac_f16_e32 v18, 0x3853, v27
	v_sub_f16_e32 v24, v42, v24
	v_mul_f16_e32 v27, 0xb08e, v3
	v_fmamk_f16 v42, v54, 0xb08e, v37
	v_add_f16_e32 v19, v50, v19
	v_add_f16_e32 v18, v18, v21
	v_mul_f16_e32 v21, 0x3482, v52
	v_fmamk_f16 v50, v24, 0x3beb, v27
	v_add_f16_e32 v28, v42, v28
	v_fma_f16 v37, v54, 0xb08e, -v37
	v_fmac_f16_e32 v27, 0xbbeb, v24
	v_fmamk_f16 v42, v54, 0xbbad, v21
	v_add_f16_e32 v26, v50, v26
	v_mul_f16_e32 v50, 0xbbad, v3
	v_add_f16_e32 v31, v37, v31
	v_add_f16_e32 v27, v27, v32
	v_add_f16_e32 v30, v42, v30
	v_mul_f16_e32 v32, 0x3b47, v52
	v_fmamk_f16 v37, v24, 0xb482, v50
	v_mul_f16_e32 v42, 0x36a6, v3
	v_add_f16_e32 v53, v53, v55
	v_fma_f16 v21, v54, 0xbbad, -v21
	v_fmac_f16_e32 v50, 0x3482, v24
	v_fmamk_f16 v55, v54, 0x36a6, v32
	v_add_f16_e32 v35, v37, v35
	v_fmamk_f16 v37, v24, 0xbb47, v42
	v_add_f16_e32 v21, v21, v29
	v_add_f16_e32 v29, v50, v40
	;; [unrolled: 1-line block ×3, first 2 shown]
	v_mul_f16_e32 v44, 0xb853, v52
	v_fma_f16 v32, v54, 0x36a6, -v32
	v_fmac_f16_e32 v42, 0x3b47, v24
	v_add_f16_e32 v37, v37, v48
	v_mul_f16_e32 v48, 0x3abb, v3
	v_fmamk_f16 v50, v54, 0x3abb, v44
	v_add_f16_e32 v32, v32, v41
	v_add_f16_e32 v41, v42, v46
	v_mul_f16_e32 v42, 0xba0c, v52
	v_fmamk_f16 v46, v24, 0x3853, v48
	v_add_f16_e32 v47, v50, v47
	v_fma_f16 v44, v54, 0x3abb, -v44
	v_fmac_f16_e32 v48, 0xb853, v24
	v_fmamk_f16 v50, v54, 0xb93d, v42
	v_add_f16_e32 v46, v46, v49
	v_mul_f16_e32 v3, 0xb93d, v3
	v_sub_f16_e32 v49, v5, v2
	v_add_f16_e32 v2, v5, v2
	v_add_f16_e32 v44, v44, v45
	;; [unrolled: 1-line block ×4, first 2 shown]
	v_fmamk_f16 v50, v24, 0x3a0c, v3
	v_fma_f16 v42, v54, 0xb93d, -v42
	v_add_f16_e32 v5, v43, v25
	v_mul_f16_e32 v51, 0xba0c, v49
	v_fmac_f16_e32 v3, 0xba0c, v24
	v_sub_f16_e32 v24, v43, v25
	v_mul_f16_e32 v25, 0xb93d, v2
	v_add_f16_e32 v19, v42, v19
	v_fmamk_f16 v43, v5, 0xb93d, v51
	v_add_f16_e32 v3, v3, v18
	v_mul_f16_e32 v42, 0x3beb, v49
	v_fmamk_f16 v18, v24, 0x3a0c, v25
	v_fmac_f16_e32 v25, 0xba0c, v24
	v_add_f16_e32 v36, v50, v36
	v_add_f16_e32 v28, v43, v28
	v_fma_f16 v43, v5, 0xb93d, -v51
	v_add_f16_e32 v18, v18, v26
	v_fmamk_f16 v26, v5, 0xb08e, v42
	v_mul_f16_e32 v50, 0xb08e, v2
	v_add_f16_e32 v25, v25, v27
	v_mul_f16_e32 v27, 0xb853, v49
	v_add_f16_e32 v31, v43, v31
	v_add_f16_e32 v26, v26, v30
	v_fmamk_f16 v30, v24, 0xbbeb, v50
	v_fma_f16 v42, v5, 0xb08e, -v42
	v_fmamk_f16 v43, v5, 0x3abb, v27
	v_mul_f16_e32 v51, 0x3abb, v2
	v_fma_f16 v27, v5, 0x3abb, -v27
	v_add_f16_e32 v30, v30, v35
	v_add_f16_e32 v21, v42, v21
	v_add_f16_e32 v35, v43, v40
	v_fmamk_f16 v40, v24, 0x3853, v51
	v_mul_f16_e32 v42, 0xb482, v49
	v_fmac_f16_e32 v51, 0xb853, v24
	v_mul_f16_e32 v43, 0xbbad, v2
	v_add_f16_e32 v27, v27, v32
	v_add_f16_e32 v37, v40, v37
	v_fmamk_f16 v40, v5, 0xbbad, v42
	v_add_f16_e32 v32, v51, v41
	v_fmamk_f16 v41, v24, 0x3482, v43
	v_mul_f16_e32 v49, 0x3b47, v49
	v_fma_f16 v42, v5, 0xbbad, -v42
	v_fmac_f16_e32 v43, 0xb482, v24
	v_add_f16_e32 v40, v40, v47
	v_add_f16_e32 v41, v41, v46
	v_fmamk_f16 v46, v5, 0x36a6, v49
	v_add_f16_e32 v42, v42, v44
	v_sub_f16_e32 v44, v0, v1
	v_mul_f16_e32 v2, 0x36a6, v2
	v_add_f16_e32 v43, v43, v45
	v_add_f16_e32 v45, v46, v48
	;; [unrolled: 1-line block ×4, first 2 shown]
	v_mul_f16_e32 v0, 0xb482, v44
	v_fmamk_f16 v46, v24, 0xbb47, v2
	v_fma_f16 v1, v5, 0x36a6, -v49
	v_fmac_f16_e32 v2, 0x3b47, v24
	v_sub_f16_e32 v4, v4, v22
	v_mul_f16_e32 v5, 0xbbad, v48
	v_fmamk_f16 v22, v47, 0xbbad, v0
	v_add_f16_e32 v36, v46, v36
	v_add_f16_e32 v46, v1, v19
	;; [unrolled: 1-line block ×3, first 2 shown]
	v_fmamk_f16 v1, v4, 0x3482, v5
	v_add_f16_e32 v3, v22, v28
	v_mul_f16_e32 v22, 0x3853, v44
	v_fma_f16 v0, v47, 0xbbad, -v0
	v_fmac_f16_e32 v50, 0x3beb, v24
	v_fmac_f16_e32 v5, 0xb482, v4
	v_add_f16_e32 v28, v1, v18
	v_mul_f16_e32 v24, 0x3abb, v48
	v_fmamk_f16 v1, v47, 0x3abb, v22
	v_add_f16_e32 v19, v0, v31
	v_mul_f16_e32 v0, 0xba0c, v44
	v_add_f16_e32 v29, v50, v29
	v_add_f16_e32 v18, v5, v25
	v_fmamk_f16 v5, v4, 0xb853, v24
	v_add_f16_e32 v26, v1, v26
	v_fma_f16 v1, v47, 0x3abb, -v22
	v_fmac_f16_e32 v24, 0x3853, v4
	v_fmamk_f16 v22, v47, 0xb93d, v0
	v_mul_f16_e32 v25, 0xb93d, v48
	v_add_f16_e32 v5, v5, v30
	v_add_f16_e32 v1, v1, v21
	;; [unrolled: 1-line block ×4, first 2 shown]
	v_mul_f16_e32 v22, 0x3b47, v44
	v_fmamk_f16 v29, v4, 0x3a0c, v25
	v_fmac_f16_e32 v25, 0xba0c, v4
	v_fma_f16 v0, v47, 0xb93d, -v0
	v_mul_f16_e32 v30, 0x36a6, v48
	v_fmamk_f16 v31, v47, 0x36a6, v22
	v_mul_f16_e32 v35, 0xb08e, v48
	v_add_f16_e32 v25, v25, v32
	v_mul_f16_e32 v32, 0xbbeb, v44
	v_add_f16_e32 v29, v29, v37
	v_add_f16_e32 v0, v0, v27
	v_fmamk_f16 v27, v4, 0xbb47, v30
	v_add_f16_e32 v31, v31, v40
	v_fmamk_f16 v37, v47, 0xb08e, v32
	v_fmamk_f16 v40, v4, 0x3beb, v35
	v_fma_f16 v22, v47, 0x36a6, -v22
	v_fmac_f16_e32 v30, 0x3b47, v4
	v_fma_f16 v32, v47, 0xb08e, -v32
	v_fmac_f16_e32 v35, 0xbbeb, v4
	v_pack_b32_f16 v6, v6, v7
	v_pack_b32_f16 v3, v3, v28
	v_add_f16_e32 v27, v27, v41
	v_add_f16_e32 v37, v37, v45
	;; [unrolled: 1-line block ×7, first 2 shown]
	ds_write2_b32 v38, v6, v3 offset1:13
	v_pack_b32_f16 v3, v26, v5
	v_pack_b32_f16 v5, v21, v29
	;; [unrolled: 1-line block ×9, first 2 shown]
	ds_write2_b32 v38, v3, v5 offset0:26 offset1:39
	ds_write2_b32 v38, v6, v4 offset0:52 offset1:65
	;; [unrolled: 1-line block ×4, first 2 shown]
	ds_write_b32 v38, v26 offset:520
	s_waitcnt lgkmcnt(0)
	s_barrier
	buffer_gl0_inv
	ds_read2_b32 v[2:3], v33 offset1:52
	ds_read2_b32 v[21:22], v33 offset0:143 offset1:195
	ds_read2_b32 v[6:7], v23 offset0:30 offset1:82
	;; [unrolled: 1-line block ×3, first 2 shown]
	s_and_saveexec_b32 s1, s0
	s_cbranch_execz .LBB0_19
; %bb.18:
	v_add_nc_u32_e32 v18, 0x600, v33
	ds_read2_b32 v[0:1], v33 offset0:104 offset1:247
	ds_read2_b32 v[19:20], v18 offset0:6 offset1:149
	s_waitcnt lgkmcnt(1)
	v_lshrrev_b32_e32 v25, 16, v0
	v_lshrrev_b32_e32 v24, 16, v1
	s_waitcnt lgkmcnt(0)
	v_lshrrev_b32_e32 v18, 16, v19
	v_lshrrev_b32_e32 v39, 16, v20
.LBB0_19:
	s_or_b32 exec_lo, exec_lo, s1
	s_waitcnt lgkmcnt(1)
	v_lshrrev_b32_e32 v28, 16, v6
	v_lshrrev_b32_e32 v27, 16, v21
	s_waitcnt lgkmcnt(0)
	v_lshrrev_b32_e32 v29, 16, v4
	v_lshrrev_b32_e32 v31, 16, v22
	;; [unrolled: 1-line block ×3, first 2 shown]
	v_mul_f16_sdwa v37, v15, v28 dst_sel:DWORD dst_unused:UNUSED_PAD src0_sel:WORD_1 src1_sel:DWORD
	v_mul_f16_sdwa v35, v14, v27 dst_sel:DWORD dst_unused:UNUSED_PAD src0_sel:WORD_1 src1_sel:DWORD
	;; [unrolled: 1-line block ×4, first 2 shown]
	v_lshrrev_b32_e32 v38, 16, v5
	v_fmac_f16_e32 v37, v15, v6
	v_mul_f16_sdwa v6, v16, v29 dst_sel:DWORD dst_unused:UNUSED_PAD src0_sel:WORD_1 src1_sel:DWORD
	v_fmac_f16_e32 v35, v14, v21
	v_fma_f16 v14, v14, v27, -v36
	v_fma_f16 v15, v15, v28, -v40
	v_mul_f16_sdwa v21, v16, v4 dst_sel:DWORD dst_unused:UNUSED_PAD src0_sel:WORD_1 src1_sel:DWORD
	v_mul_f16_sdwa v27, v11, v31 dst_sel:DWORD dst_unused:UNUSED_PAD src0_sel:WORD_1 src1_sel:DWORD
	v_mul_f16_sdwa v28, v11, v22 dst_sel:DWORD dst_unused:UNUSED_PAD src0_sel:WORD_1 src1_sel:DWORD
	v_fmac_f16_e32 v6, v16, v4
	v_mul_f16_sdwa v4, v12, v32 dst_sel:DWORD dst_unused:UNUSED_PAD src0_sel:WORD_1 src1_sel:DWORD
	v_lshrrev_b32_e32 v26, 16, v2
	v_fma_f16 v16, v16, v29, -v21
	v_fmac_f16_e32 v27, v11, v22
	v_fma_f16 v11, v11, v31, -v28
	v_fmac_f16_e32 v4, v12, v7
	v_mul_f16_sdwa v7, v12, v7 dst_sel:DWORD dst_unused:UNUSED_PAD src0_sel:WORD_1 src1_sel:DWORD
	v_mul_f16_sdwa v28, v13, v38 dst_sel:DWORD dst_unused:UNUSED_PAD src0_sel:WORD_1 src1_sel:DWORD
	;; [unrolled: 1-line block ×3, first 2 shown]
	v_lshrrev_b32_e32 v30, 16, v3
	v_sub_f16_e32 v15, v26, v15
	v_sub_f16_e32 v16, v14, v16
	v_fma_f16 v7, v12, v32, -v7
	v_fmac_f16_e32 v28, v13, v5
	v_fma_f16 v5, v13, v38, -v29
	v_sub_f16_e32 v21, v2, v37
	v_sub_f16_e32 v6, v35, v6
	v_fma_f16 v26, v26, 2.0, -v15
	v_fma_f16 v14, v14, 2.0, -v16
	v_sub_f16_e32 v4, v3, v4
	v_sub_f16_e32 v7, v30, v7
	;; [unrolled: 1-line block ×4, first 2 shown]
	v_fma_f16 v2, v2, 2.0, -v21
	v_fma_f16 v22, v35, 2.0, -v6
	v_sub_f16_e32 v12, v26, v14
	v_add_f16_e32 v14, v21, v16
	v_fma_f16 v3, v3, 2.0, -v4
	v_fma_f16 v16, v30, 2.0, -v7
	v_fma_f16 v27, v27, 2.0, -v13
	v_fma_f16 v11, v11, 2.0, -v5
	v_sub_f16_e32 v22, v2, v22
	v_sub_f16_e32 v6, v15, v6
	v_add_f16_e32 v5, v4, v5
	v_sub_f16_e32 v27, v3, v27
	v_sub_f16_e32 v11, v16, v11
	;; [unrolled: 1-line block ×3, first 2 shown]
	v_fma_f16 v2, v2, 2.0, -v22
	v_fma_f16 v26, v26, 2.0, -v12
	;; [unrolled: 1-line block ×8, first 2 shown]
	v_pack_b32_f16 v2, v2, v26
	v_pack_b32_f16 v3, v3, v16
	v_pack_b32_f16 v15, v21, v15
	v_pack_b32_f16 v12, v22, v12
	v_pack_b32_f16 v4, v4, v7
	v_pack_b32_f16 v7, v27, v11
	v_pack_b32_f16 v6, v14, v6
	v_pack_b32_f16 v5, v5, v13
	ds_write2_b32 v33, v2, v3 offset1:52
	ds_write2_b32 v33, v15, v4 offset0:143 offset1:195
	ds_write2_b32 v23, v12, v7 offset0:30 offset1:82
	ds_write2_b32 v23, v6, v5 offset0:173 offset1:225
	s_and_saveexec_b32 s1, s0
	s_cbranch_execz .LBB0_21
; %bb.20:
	v_mul_f16_sdwa v2, v9, v18 dst_sel:DWORD dst_unused:UNUSED_PAD src0_sel:WORD_1 src1_sel:DWORD
	v_mul_f16_sdwa v3, v8, v1 dst_sel:DWORD dst_unused:UNUSED_PAD src0_sel:WORD_1 src1_sel:DWORD
	;; [unrolled: 1-line block ×6, first 2 shown]
	v_fmac_f16_e32 v2, v9, v19
	v_fma_f16 v3, v8, v24, -v3
	v_fmac_f16_e32 v5, v8, v1
	v_fmac_f16_e32 v6, v10, v20
	v_fma_f16 v1, v9, v18, -v4
	v_fma_f16 v4, v10, v39, -v7
	v_sub_f16_e32 v2, v0, v2
	v_sub_f16_e32 v6, v5, v6
	;; [unrolled: 1-line block ×4, first 2 shown]
	v_fma_f16 v0, v0, 2.0, -v2
	v_fma_f16 v5, v5, 2.0, -v6
	;; [unrolled: 1-line block ×4, first 2 shown]
	v_add_f16_e32 v4, v2, v4
	v_sub_f16_e32 v6, v1, v6
	v_sub_f16_e32 v5, v0, v5
	;; [unrolled: 1-line block ×3, first 2 shown]
	v_fma_f16 v2, v2, 2.0, -v4
	v_fma_f16 v1, v1, 2.0, -v6
	;; [unrolled: 1-line block ×3, first 2 shown]
	v_pack_b32_f16 v4, v4, v6
	v_fma_f16 v7, v7, 2.0, -v3
	v_pack_b32_f16 v3, v5, v3
	v_pack_b32_f16 v1, v2, v1
	v_add_nc_u32_e32 v2, 0x600, v33
	v_pack_b32_f16 v0, v0, v7
	ds_write2_b32 v33, v0, v1 offset0:104 offset1:247
	ds_write2_b32 v2, v3, v4 offset0:6 offset1:149
.LBB0_21:
	s_or_b32 exec_lo, exec_lo, s1
	s_waitcnt lgkmcnt(0)
	s_barrier
	buffer_gl0_inv
	s_and_b32 exec_lo, exec_lo, vcc_lo
	s_cbranch_execz .LBB0_23
; %bb.22:
	s_clause 0x5
	global_load_dword v7, v33, s[18:19]
	global_load_dword v9, v33, s[18:19] offset:176
	global_load_dword v10, v33, s[18:19] offset:352
	;; [unrolled: 1-line block ×5, first 2 shown]
	ds_read_b32 v23, v33
	global_load_dword v8, v33, s[18:19] offset:1056
	v_mad_u64_u32 v[12:13], null, s6, v17, 0
	ds_read2_b32 v[18:19], v33 offset0:44 offset1:88
	v_mad_u64_u32 v[14:15], null, s4, v34, 0
	ds_read2_b32 v[20:21], v33 offset0:132 offset1:176
	s_mov_b32 s20, 0x55ee191
	s_mov_b32 s21, 0x3f5ca4b3
	v_mov_b32_e32 v0, v13
	v_add_co_u32 v2, s0, s18, v33
	v_add_co_ci_u32_e64 v3, null, s19, 0, s0
	v_mad_u64_u32 v[4:5], null, s7, v17, v[0:1]
	v_mov_b32_e32 v0, v15
	v_add_nc_u32_e32 v1, 0x200, v33
	s_mul_i32 s0, s5, 0xb0
	s_mul_hi_u32 s22, s4, 0xb0
	s_mul_i32 s17, s4, 0xb0
	s_add_i32 s22, s22, s0
	v_mad_u64_u32 v[15:16], null, s5, v34, v[0:1]
	s_waitcnt lgkmcnt(2)
	v_lshrrev_b32_e32 v16, 16, v23
	ds_read2_b32 v[0:1], v1 offset0:92 offset1:136
	s_waitcnt lgkmcnt(2)
	v_lshrrev_b32_e32 v17, 16, v18
	v_lshrrev_b32_e32 v24, 16, v19
	s_waitcnt lgkmcnt(1)
	v_lshrrev_b32_e32 v25, 16, v20
	v_lshrrev_b32_e32 v26, 16, v21
	v_mov_b32_e32 v13, v4
	v_lshlrev_b64 v[14:15], 2, v[14:15]
	s_clause 0x2
	global_load_dword v5, v33, s[18:19] offset:1232
	global_load_dword v4, v33, s[18:19] offset:1408
	;; [unrolled: 1-line block ×3, first 2 shown]
	v_lshlrev_b64 v[12:13], 2, v[12:13]
	v_add_co_u32 v12, vcc_lo, s12, v12
	v_add_co_ci_u32_e32 v13, vcc_lo, s13, v13, vcc_lo
	s_waitcnt lgkmcnt(0)
	v_lshrrev_b32_e32 v38, 16, v0
	v_add_co_u32 v12, vcc_lo, v12, v14
	v_add_co_ci_u32_e32 v13, vcc_lo, v13, v15, vcc_lo
	v_add_co_u32 v14, vcc_lo, v12, s17
	v_add_co_ci_u32_e32 v15, vcc_lo, s22, v13, vcc_lo
	s_waitcnt vmcnt(9)
	v_mul_f16_sdwa v27, v16, v7 dst_sel:DWORD dst_unused:UNUSED_PAD src0_sel:DWORD src1_sel:WORD_1
	v_mul_f16_sdwa v28, v23, v7 dst_sel:DWORD dst_unused:UNUSED_PAD src0_sel:DWORD src1_sel:WORD_1
	s_waitcnt vmcnt(8)
	v_mul_f16_sdwa v29, v17, v9 dst_sel:DWORD dst_unused:UNUSED_PAD src0_sel:DWORD src1_sel:WORD_1
	v_mul_f16_sdwa v30, v18, v9 dst_sel:DWORD dst_unused:UNUSED_PAD src0_sel:DWORD src1_sel:WORD_1
	s_waitcnt vmcnt(7)
	v_mul_f16_sdwa v31, v24, v10 dst_sel:DWORD dst_unused:UNUSED_PAD src0_sel:DWORD src1_sel:WORD_1
	v_fmac_f16_e32 v27, v23, v7
	v_mul_f16_sdwa v34, v19, v10 dst_sel:DWORD dst_unused:UNUSED_PAD src0_sel:DWORD src1_sel:WORD_1
	v_fma_f16 v7, v7, v16, -v28
	v_fmac_f16_e32 v29, v18, v9
	v_fma_f16 v18, v9, v17, -v30
	v_cvt_f32_f16_e32 v9, v27
	v_fmac_f16_e32 v31, v19, v10
	v_fma_f16 v19, v10, v24, -v34
	v_cvt_f32_f16_e32 v7, v7
	s_waitcnt vmcnt(6)
	v_mul_f16_sdwa v35, v25, v11 dst_sel:DWORD dst_unused:UNUSED_PAD src0_sel:DWORD src1_sel:WORD_1
	v_cvt_f64_f32_e32 v[9:10], v9
	v_mul_f16_sdwa v36, v20, v11 dst_sel:DWORD dst_unused:UNUSED_PAD src0_sel:DWORD src1_sel:WORD_1
	s_waitcnt vmcnt(5)
	v_mul_f16_sdwa v37, v26, v22 dst_sel:DWORD dst_unused:UNUSED_PAD src0_sel:DWORD src1_sel:WORD_1
	v_cvt_f64_f32_e32 v[16:17], v7
	v_cvt_f32_f16_e32 v7, v29
	v_mul_f16_sdwa v39, v21, v22 dst_sel:DWORD dst_unused:UNUSED_PAD src0_sel:DWORD src1_sel:WORD_1
	s_waitcnt vmcnt(4)
	v_mul_f16_sdwa v40, v38, v32 dst_sel:DWORD dst_unused:UNUSED_PAD src0_sel:DWORD src1_sel:WORD_1
	v_fmac_f16_e32 v35, v20, v11
	v_cvt_f32_f16_e32 v20, v18
	v_cvt_f32_f16_e32 v24, v19
	v_cvt_f64_f32_e32 v[18:19], v7
	v_mul_f16_sdwa v41, v0, v32 dst_sel:DWORD dst_unused:UNUSED_PAD src0_sel:DWORD src1_sel:WORD_1
	v_fmac_f16_e32 v37, v21, v22
	v_fma_f16 v22, v22, v26, -v39
	v_fmac_f16_e32 v40, v0, v32
	v_cvt_f32_f16_e32 v0, v31
	v_cvt_f64_f32_e32 v[20:21], v20
	v_fma_f16 v11, v11, v25, -v36
	v_cvt_f32_f16_e32 v34, v22
	v_cvt_f32_f16_e32 v7, v35
	v_cvt_f64_f32_e32 v[22:23], v0
	v_cvt_f64_f32_e32 v[24:25], v24
	v_mul_f64 v[9:10], v[9:10], s[20:21]
	v_cvt_f32_f16_e32 v11, v11
	v_cvt_f64_f32_e32 v[26:27], v7
	v_mul_f64 v[16:17], v[16:17], s[20:21]
	v_fma_f16 v0, v32, v38, -v41
	v_cvt_f32_f16_e32 v30, v37
	v_cvt_f64_f32_e32 v[28:29], v11
	v_add_co_u32 v38, vcc_lo, v14, s17
	v_cvt_f32_f16_e32 v0, v0
	v_mul_f64 v[18:19], v[18:19], s[20:21]
	v_cvt_f64_f32_e32 v[30:31], v30
	v_add_co_ci_u32_e32 v39, vcc_lo, s22, v15, vcc_lo
	v_cvt_f64_f32_e32 v[42:43], v0
	v_cvt_f32_f16_e32 v36, v40
	v_mul_f64 v[20:21], v[20:21], s[20:21]
	v_cvt_f64_f32_e32 v[34:35], v34
	v_add_co_u32 v40, vcc_lo, v38, s17
	v_mul_f64 v[22:23], v[22:23], s[20:21]
	v_mul_f64 v[24:25], v[24:25], s[20:21]
	v_and_or_b32 v0, 0x1ff, v10, v9
	v_add_co_ci_u32_e32 v41, vcc_lo, s22, v39, vcc_lo
	v_and_or_b32 v11, 0x1ff, v17, v16
	v_cvt_f64_f32_e32 v[36:37], v36
	v_cmp_ne_u32_e32 vcc_lo, 0, v0
	v_mul_f64 v[26:27], v[26:27], s[20:21]
	v_mul_f64 v[28:29], v[28:29], s[20:21]
	v_lshrrev_b32_e32 v7, 8, v10
	v_bfe_u32 v9, v10, 20, 11
	v_and_or_b32 v18, 0x1ff, v19, v18
	v_cndmask_b32_e64 v0, 0, 1, vcc_lo
	v_cmp_ne_u32_e32 vcc_lo, 0, v11
	v_mul_f64 v[30:31], v[30:31], s[20:21]
	v_lshrrev_b32_e32 v16, 8, v17
	v_bfe_u32 v32, v17, 20, 11
	v_and_or_b32 v20, 0x1ff, v21, v20
	v_cndmask_b32_e64 v11, 0, 1, vcc_lo
	v_cmp_ne_u32_e32 vcc_lo, 0, v18
	v_mul_f64 v[34:35], v[34:35], s[20:21]
	v_and_or_b32 v22, 0x1ff, v23, v22
	v_and_or_b32 v24, 0x1ff, v25, v24
	;; [unrolled: 1-line block ×3, first 2 shown]
	v_cndmask_b32_e64 v18, 0, 1, vcc_lo
	v_cmp_ne_u32_e32 vcc_lo, 0, v20
	v_lshrrev_b32_e32 v44, 8, v19
	v_mul_f64 v[36:37], v[36:37], s[20:21]
	v_bfe_u32 v45, v19, 20, 11
	v_and_or_b32 v26, 0x1ff, v27, v26
	v_cndmask_b32_e64 v20, 0, 1, vcc_lo
	v_cmp_ne_u32_e32 vcc_lo, 0, v22
	v_and_or_b32 v28, 0x1ff, v29, v28
	v_bfe_u32 v47, v21, 20, 11
	v_sub_nc_u32_e32 v62, 0x3f1, v9
	v_add_nc_u32_e32 v9, 0xfffffc10, v9
	v_cndmask_b32_e64 v22, 0, 1, vcc_lo
	v_cmp_ne_u32_e32 vcc_lo, 0, v24
	v_and_or_b32 v30, 0x1ff, v31, v30
	v_sub_nc_u32_e32 v63, 0x3f1, v32
	v_and_or_b32 v11, 0xffe, v16, v11
	v_lshrrev_b32_e32 v46, 8, v21
	v_cndmask_b32_e64 v24, 0, 1, vcc_lo
	v_cmp_ne_u32_e32 vcc_lo, 0, v26
	v_and_or_b32 v34, 0x1ff, v35, v34
	v_bfe_u32 v49, v23, 20, 11
	v_bfe_u32 v51, v25, 20, 11
	v_add_nc_u32_e32 v32, 0xfffffc10, v32
	v_cndmask_b32_e64 v26, 0, 1, vcc_lo
	v_cmp_ne_u32_e32 vcc_lo, 0, v28
	v_and_or_b32 v36, 0x1ff, v37, v36
	v_sub_nc_u32_e32 v64, 0x3f1, v45
	v_sub_nc_u32_e32 v65, 0x3f1, v47
	v_med3_i32 v7, v62, 0, 13
	v_cndmask_b32_e64 v28, 0, 1, vcc_lo
	v_cmp_ne_u32_e32 vcc_lo, 0, v30
	v_med3_i32 v16, v63, 0, 13
	v_and_or_b32 v18, 0xffe, v44, v18
	v_or_b32_e32 v62, 0x1000, v0
	v_lshl_or_b32 v63, v9, 12, v0
	v_cndmask_b32_e64 v30, 0, 1, vcc_lo
	v_cmp_ne_u32_e32 vcc_lo, 0, v34
	v_lshrrev_b32_e32 v48, 8, v23
	v_lshrrev_b32_e32 v50, 8, v25
	v_bfe_u32 v53, v27, 20, 11
	v_bfe_u32 v55, v29, 20, 11
	v_cndmask_b32_e64 v34, 0, 1, vcc_lo
	v_cmp_ne_u32_e32 vcc_lo, 0, v36
	v_add_nc_u32_e32 v45, 0xfffffc10, v45
	v_sub_nc_u32_e32 v66, 0x3f1, v49
	v_sub_nc_u32_e32 v67, 0x3f1, v51
	v_med3_i32 v44, v64, 0, 13
	v_cndmask_b32_e64 v36, 0, 1, vcc_lo
	v_cmp_ne_u32_e32 vcc_lo, 0, v0
	v_and_or_b32 v20, 0xffe, v46, v20
	v_med3_i32 v46, v65, 0, 13
	v_or_b32_e32 v64, 0x1000, v11
	v_lshl_or_b32 v65, v32, 12, v11
	v_cndmask_b32_e64 v0, 0, 1, vcc_lo
	v_cmp_ne_u32_e32 vcc_lo, 0, v11
	v_lshrrev_b32_e32 v52, 8, v27
	v_lshrrev_b32_e32 v54, 8, v29
	v_bfe_u32 v57, v31, 20, 11
	v_bfe_u32 v59, v35, 20, 11
	v_cndmask_b32_e64 v11, 0, 1, vcc_lo
	v_cmp_ne_u32_e32 vcc_lo, 0, v18
	v_add_nc_u32_e32 v47, 0xfffffc10, v47
	v_sub_nc_u32_e32 v68, 0x3f1, v53
	v_sub_nc_u32_e32 v69, 0x3f1, v55
	v_and_or_b32 v22, 0xffe, v48, v22
	v_med3_i32 v48, v66, 0, 13
	v_and_or_b32 v24, 0xffe, v50, v24
	v_med3_i32 v50, v67, 0, 13
	v_or_b32_e32 v66, 0x1000, v18
	v_lshl_or_b32 v67, v45, 12, v18
	v_cndmask_b32_e64 v18, 0, 1, vcc_lo
	v_cmp_ne_u32_e32 vcc_lo, 0, v20
	v_lshrrev_b32_e32 v56, 8, v31
	v_lshrrev_b32_e32 v58, 8, v35
	v_add_nc_u32_e32 v49, 0xfffffc10, v49
	v_sub_nc_u32_e32 v70, 0x3f1, v57
	v_sub_nc_u32_e32 v71, 0x3f1, v59
	v_and_or_b32 v26, 0xffe, v52, v26
	v_med3_i32 v52, v68, 0, 13
	v_and_or_b32 v28, 0xffe, v54, v28
	v_med3_i32 v54, v69, 0, 13
	v_or_b32_e32 v68, 0x1000, v20
	v_lshl_or_b32 v69, v47, 12, v20
	v_cndmask_b32_e64 v20, 0, 1, vcc_lo
	v_cmp_ne_u32_e32 vcc_lo, 0, v22
	v_add_nc_u32_e32 v51, 0xfffffc10, v51
	v_and_or_b32 v30, 0xffe, v56, v30
	v_med3_i32 v56, v70, 0, 13
	v_and_or_b32 v34, 0xffe, v58, v34
	v_med3_i32 v58, v71, 0, 13
	v_or_b32_e32 v70, 0x1000, v22
	v_lshl_or_b32 v71, v49, 12, v22
	v_cndmask_b32_e64 v22, 0, 1, vcc_lo
	v_cmp_ne_u32_e32 vcc_lo, 0, v24
	v_add_nc_u32_e32 v53, 0xfffffc10, v53
	v_or_b32_e32 v72, 0x1000, v24
	v_lshl_or_b32 v73, v51, 12, v24
	v_add_nc_u32_e32 v55, 0xfffffc10, v55
	v_cndmask_b32_e64 v24, 0, 1, vcc_lo
	v_cmp_ne_u32_e32 vcc_lo, 0, v26
	v_or_b32_e32 v74, 0x1000, v26
	v_lshl_or_b32 v75, v53, 12, v26
	v_lshrrev_b32_e32 v82, v7, v62
	v_add_nc_u32_e32 v57, 0xfffffc10, v57
	v_cndmask_b32_e64 v26, 0, 1, vcc_lo
	v_cmp_ne_u32_e32 vcc_lo, 0, v28
	v_or_b32_e32 v76, 0x1000, v28
	v_lshl_or_b32 v77, v55, 12, v28
	v_lshrrev_b32_e32 v83, v16, v64
	v_lshlrev_b32_e32 v7, v7, v82
	v_cndmask_b32_e64 v28, 0, 1, vcc_lo
	v_cmp_ne_u32_e32 vcc_lo, 0, v30
	v_or_b32_e32 v78, 0x1000, v30
	v_lshl_or_b32 v79, v57, 12, v30
	v_lshrrev_b32_e32 v84, v44, v66
	v_lshlrev_b32_e32 v16, v16, v83
	v_cndmask_b32_e64 v30, 0, 1, vcc_lo
	v_cmp_ne_u32_e32 vcc_lo, v7, v62
	v_lshrrev_b32_e32 v85, v46, v68
	v_lshlrev_b32_e32 v44, v44, v84
	v_lshrrev_b32_e32 v86, v48, v70
	v_lshrrev_b32_e32 v87, v50, v72
	v_cndmask_b32_e64 v7, 0, 1, vcc_lo
	v_cmp_ne_u32_e32 vcc_lo, v16, v64
	v_lshlrev_b32_e32 v46, v46, v85
	v_lshlrev_b32_e32 v48, v48, v86
	v_lshrrev_b32_e32 v88, v52, v74
	v_lshlrev_b32_e32 v50, v50, v87
	v_cndmask_b32_e64 v16, 0, 1, vcc_lo
	v_cmp_ne_u32_e32 vcc_lo, v44, v66
	v_lshrrev_b32_e32 v89, v54, v76
	v_lshlrev_b32_e32 v52, v52, v88
	v_or_b32_e32 v80, 0x1000, v34
	v_lshrrev_b32_e32 v90, v56, v78
	v_cndmask_b32_e64 v44, 0, 1, vcc_lo
	v_cmp_ne_u32_e32 vcc_lo, v46, v68
	v_lshlrev_b32_e32 v54, v54, v89
	v_lshrrev_b32_e32 v91, v58, v80
	v_lshlrev_b32_e32 v56, v56, v90
	v_or_b32_e32 v7, v82, v7
	v_cndmask_b32_e64 v46, 0, 1, vcc_lo
	v_cmp_ne_u32_e32 vcc_lo, v48, v70
	v_lshlrev_b32_e32 v58, v58, v91
	v_or_b32_e32 v16, v83, v16
	v_or_b32_e32 v44, v84, v44
	v_or_b32_e32 v46, v85, v46
	v_cndmask_b32_e64 v48, 0, 1, vcc_lo
	v_cmp_ne_u32_e32 vcc_lo, v50, v72
	v_add_nc_u32_e32 v59, 0xfffffc10, v59
	v_lshl_or_b32 v0, v0, 9, 0x7c00
	v_lshl_or_b32 v11, v11, 9, 0x7c00
	v_or_b32_e32 v48, v86, v48
	v_cndmask_b32_e64 v50, 0, 1, vcc_lo
	v_cmp_ne_u32_e32 vcc_lo, v52, v74
	v_lshl_or_b32 v81, v59, 12, v34
	v_lshl_or_b32 v18, v18, 9, 0x7c00
	;; [unrolled: 1-line block ×3, first 2 shown]
	v_or_b32_e32 v50, v87, v50
	v_cndmask_b32_e64 v52, 0, 1, vcc_lo
	v_cmp_ne_u32_e32 vcc_lo, v54, v76
	v_lshl_or_b32 v22, v22, 9, 0x7c00
	v_lshl_or_b32 v24, v24, 9, 0x7c00
	;; [unrolled: 1-line block ×3, first 2 shown]
	v_or_b32_e32 v52, v88, v52
	v_cndmask_b32_e64 v54, 0, 1, vcc_lo
	v_cmp_ne_u32_e32 vcc_lo, v56, v78
	v_lshrrev_b32_e32 v10, 16, v10
	v_lshrrev_b32_e32 v19, 16, v19
	;; [unrolled: 1-line block ×3, first 2 shown]
	v_or_b32_e32 v54, v89, v54
	v_cndmask_b32_e64 v56, 0, 1, vcc_lo
	v_cmp_ne_u32_e32 vcc_lo, v58, v80
	v_lshrrev_b32_e32 v23, 16, v23
	v_lshrrev_b32_e32 v17, 16, v17
	;; [unrolled: 1-line block ×3, first 2 shown]
	v_or_b32_e32 v56, v90, v56
	v_cndmask_b32_e64 v58, 0, 1, vcc_lo
	v_cmp_gt_i32_e32 vcc_lo, 1, v9
	v_lshl_or_b32 v28, v28, 9, 0x7c00
	v_lshrrev_b32_e32 v25, 16, v25
	v_lshrrev_b32_e32 v29, 16, v29
	v_or_b32_e32 v58, v91, v58
	v_cndmask_b32_e32 v7, v63, v7, vcc_lo
	v_cmp_gt_i32_e32 vcc_lo, 1, v32
	v_lshl_or_b32 v30, v30, 9, 0x7c00
	v_lshrrev_b32_e32 v60, 8, v37
	v_bfe_u32 v61, v37, 20, 11
	v_and_b32_e32 v62, 7, v7
	v_cndmask_b32_e32 v16, v65, v16, vcc_lo
	v_cmp_gt_i32_e32 vcc_lo, 1, v45
	v_lshrrev_b32_e32 v7, 2, v7
	v_lshrrev_b32_e32 v31, 16, v31
	v_cmp_eq_u32_e64 s0, 3, v62
	v_and_b32_e32 v63, 7, v16
	v_cndmask_b32_e32 v44, v67, v44, vcc_lo
	v_cmp_gt_i32_e32 vcc_lo, 1, v47
	v_lshrrev_b32_e32 v16, 2, v16
	v_cmp_lt_i32_e64 s1, 5, v63
	v_and_b32_e32 v64, 7, v44
	v_cndmask_b32_e32 v46, v69, v46, vcc_lo
	v_cmp_gt_i32_e32 vcc_lo, 1, v49
	v_cmp_eq_u32_e64 s2, 3, v63
	v_lshrrev_b32_e32 v44, 2, v44
	v_cmp_lt_i32_e64 s3, 5, v64
	v_and_b32_e32 v65, 7, v46
	v_cndmask_b32_e32 v48, v71, v48, vcc_lo
	v_cmp_gt_i32_e32 vcc_lo, 1, v51
	v_cmp_eq_u32_e64 s4, 3, v64
	;; [unrolled: 6-line block ×6, first 2 shown]
	v_lshrrev_b32_e32 v54, 2, v54
	v_cmp_lt_i32_e64 s13, 5, v69
	v_and_b32_e32 v70, 7, v56
	v_cndmask_b32_e32 v58, v81, v58, vcc_lo
	v_cmp_lt_i32_e32 vcc_lo, 5, v62
	v_cmp_eq_u32_e64 s14, 3, v69
	v_lshrrev_b32_e32 v56, 2, v56
	v_cmp_lt_i32_e64 s15, 5, v70
	v_cmp_eq_u32_e64 s16, 3, v70
	s_or_b32 vcc_lo, s0, vcc_lo
	v_and_b32_e32 v71, 7, v58
	v_add_co_ci_u32_e32 v7, vcc_lo, 0, v7, vcc_lo
	s_or_b32 vcc_lo, s2, s1
	v_add_co_ci_u32_e32 v16, vcc_lo, 0, v16, vcc_lo
	s_or_b32 vcc_lo, s4, s3
	v_cmp_eq_u32_e64 s0, 3, v71
	v_add_co_ci_u32_e32 v44, vcc_lo, 0, v44, vcc_lo
	s_or_b32 vcc_lo, s6, s5
	v_add_co_ci_u32_e32 v46, vcc_lo, 0, v46, vcc_lo
	s_or_b32 vcc_lo, s8, s7
	;; [unrolled: 2-line block ×6, first 2 shown]
	v_add_co_ci_u32_e32 v56, vcc_lo, 0, v56, vcc_lo
	v_cmp_gt_i32_e32 vcc_lo, 31, v9
	v_cndmask_b32_e32 v7, 0x7c00, v7, vcc_lo
	v_cmp_gt_i32_e32 vcc_lo, 31, v32
	v_cndmask_b32_e32 v16, 0x7c00, v16, vcc_lo
	;; [unrolled: 2-line block ×8, first 2 shown]
	v_cmp_eq_u32_e32 vcc_lo, 0x40f, v9
	v_cndmask_b32_e32 v0, v7, v0, vcc_lo
	v_cmp_eq_u32_e32 vcc_lo, 0x40f, v32
	v_and_or_b32 v0, 0x8000, v10, v0
	v_cndmask_b32_e32 v7, v16, v11, vcc_lo
	v_cmp_eq_u32_e32 vcc_lo, 0x40f, v45
	v_and_b32_e32 v0, 0xffff, v0
	v_and_or_b32 v7, 0x8000, v17, v7
	v_cndmask_b32_e32 v9, v44, v18, vcc_lo
	v_cmp_eq_u32_e32 vcc_lo, 0x40f, v47
	v_lshl_or_b32 v0, v7, 16, v0
	v_and_or_b32 v9, 0x8000, v19, v9
	v_cndmask_b32_e32 v11, v46, v20, vcc_lo
	v_cmp_eq_u32_e32 vcc_lo, 0x40f, v49
	v_and_b32_e32 v9, 0xffff, v9
	v_and_or_b32 v10, 0x8000, v21, v11
	v_cndmask_b32_e32 v16, v48, v22, vcc_lo
	v_cmp_eq_u32_e32 vcc_lo, 0x40f, v51
	v_lshl_or_b32 v7, v10, 16, v9
	;; [unrolled: 8-line block ×3, first 2 shown]
	v_and_or_b32 v17, 0x8000, v27, v20
	v_cndmask_b32_e32 v22, v54, v28, vcc_lo
	v_cmp_gt_i32_e32 vcc_lo, 31, v57
	v_and_b32_e32 v17, 0xffff, v17
	v_and_or_b32 v18, 0x8000, v29, v22
	v_cndmask_b32_e32 v19, 0x7c00, v56, vcc_lo
	v_cmp_eq_u32_e32 vcc_lo, 0x40f, v57
	v_lshl_or_b32 v10, v18, 16, v17
	global_store_dword v[12:13], v0, off
	global_store_dword v[14:15], v7, off
	;; [unrolled: 1-line block ×4, first 2 shown]
	v_cndmask_b32_e32 v11, v19, v30, vcc_lo
	v_cmp_lt_i32_e32 vcc_lo, 5, v71
	v_mul_f64 v[9:10], v[42:43], s[20:21]
	v_lshrrev_b32_e32 v7, 2, v58
	v_and_or_b32 v13, 0xffe, v60, v36
	v_sub_nc_u32_e32 v0, 0x3f1, v61
	s_or_b32 vcc_lo, s0, vcc_lo
	v_lshrrev_b32_e32 v14, 16, v1
	v_add_co_ci_u32_e32 v7, vcc_lo, 0, v7, vcc_lo
	v_or_b32_e32 v12, 0x1000, v13
	v_med3_i32 v0, v0, 0, 13
	v_cmp_ne_u32_e32 vcc_lo, 0, v34
	s_waitcnt vmcnt(3)
	v_mul_f16_sdwa v17, v14, v8 dst_sel:DWORD dst_unused:UNUSED_PAD src0_sel:DWORD src1_sel:WORD_1
	v_and_or_b32 v18, 0x8000, v31, v11
	global_load_dword v19, v33, s[18:19] offset:1760
	v_lshrrev_b32_e32 v16, v0, v12
	v_cndmask_b32_e64 v15, 0, 1, vcc_lo
	v_cmp_gt_i32_e32 vcc_lo, 31, v59
	v_fmac_f16_e32 v17, v1, v8
	v_mul_f16_sdwa v1, v1, v8 dst_sel:DWORD dst_unused:UNUSED_PAD src0_sel:DWORD src1_sel:WORD_1
	v_lshlrev_b32_e32 v0, v0, v16
	v_lshl_or_b32 v15, v15, 9, 0x7c00
	v_cndmask_b32_e32 v7, 0x7c00, v7, vcc_lo
	v_cmp_eq_u32_e32 vcc_lo, 0x40f, v59
	v_and_or_b32 v9, 0x1ff, v10, v9
	v_cvt_f32_f16_e32 v11, v17
	v_lshrrev_b32_e32 v20, 8, v10
	v_bfe_u32 v21, v10, 20, 11
	v_cndmask_b32_e32 v7, v7, v15, vcc_lo
	v_cmp_ne_u32_e32 vcc_lo, v0, v12
	v_add_nc_u32_e32 v15, 0xfffffc10, v61
	v_cvt_f64_f32_e32 v[11:12], v11
	v_lshrrev_b32_e32 v17, 16, v35
	v_cndmask_b32_e64 v0, 0, 1, vcc_lo
	v_cmp_ne_u32_e32 vcc_lo, 0, v9
	v_and_or_b32 v7, 0x8000, v17, v7
	v_and_b32_e32 v17, 0xffff, v18
	v_or_b32_e32 v0, v16, v0
	v_lshl_or_b32 v16, v15, 12, v13
	v_cndmask_b32_e64 v9, 0, 1, vcc_lo
	v_cmp_gt_i32_e32 vcc_lo, 1, v15
	v_lshl_or_b32 v17, v7, 16, v17
	v_fma_f16 v7, v8, v14, -v1
	v_and_or_b32 v9, 0xffe, v20, v9
	v_cndmask_b32_e32 v16, v16, v0, vcc_lo
	v_sub_nc_u32_e32 v0, 0x3f1, v21
	v_or_b32_e32 v20, 0x1000, v9
	v_and_b32_e32 v18, 7, v16
	v_med3_i32 v22, v0, 0, 13
	v_lshrrev_b32_e32 v16, 2, v16
	v_mul_f64 v[0:1], v[11:12], s[20:21]
	v_cvt_f32_f16_e32 v11, v7
	v_cmp_lt_i32_e32 vcc_lo, 5, v18
	v_cmp_eq_u32_e64 s0, 3, v18
	v_lshrrev_b32_e32 v14, v22, v20
	v_add_co_u32 v7, s1, v40, s17
	v_cvt_f64_f32_e32 v[11:12], v11
	s_or_b32 vcc_lo, s0, vcc_lo
	v_lshlrev_b32_e32 v18, v22, v14
	v_add_co_ci_u32_e32 v16, vcc_lo, 0, v16, vcc_lo
	v_cmp_ne_u32_e32 vcc_lo, 0, v13
	v_add_co_ci_u32_e64 v8, s1, s22, v41, s1
	v_cndmask_b32_e64 v13, 0, 1, vcc_lo
	v_cmp_ne_u32_e32 vcc_lo, v18, v20
	v_add_nc_u32_e32 v20, 0xfffffc10, v21
	v_add_nc_u32_e32 v21, 0x400, v33
	global_store_dword v[7:8], v17, off
	v_lshl_or_b32 v22, v13, 9, 0x7c00
	v_cndmask_b32_e64 v18, 0, 1, vcc_lo
	v_cmp_gt_i32_e32 vcc_lo, 31, v15
	v_lshl_or_b32 v23, v20, 12, v9
	v_and_or_b32 v0, 0x1ff, v1, v0
	v_or_b32_e32 v18, v14, v18
	v_cndmask_b32_e32 v16, 0x7c00, v16, vcc_lo
	v_cmp_eq_u32_e32 vcc_lo, 0x40f, v15
	ds_read2_b32 v[13:14], v21 offset0:52 offset1:96
	v_mul_f64 v[11:12], v[11:12], s[20:21]
	v_cndmask_b32_e32 v15, v16, v22, vcc_lo
	v_cmp_gt_i32_e32 vcc_lo, 1, v20
	v_bfe_u32 v22, v1, 20, 11
	v_cndmask_b32_e32 v16, v23, v18, vcc_lo
	v_cmp_ne_u32_e32 vcc_lo, 0, v0
	v_lshrrev_b32_e32 v18, 8, v1
	v_lshrrev_b32_e32 v23, 16, v37
	v_sub_nc_u32_e32 v17, 0x3f1, v22
	v_and_b32_e32 v24, 7, v16
	v_cndmask_b32_e64 v0, 0, 1, vcc_lo
	v_lshrrev_b32_e32 v16, 2, v16
	v_add_nc_u32_e32 v22, 0xfffffc10, v22
	v_med3_i32 v17, v17, 0, 13
	v_cmp_lt_i32_e32 vcc_lo, 5, v24
	v_and_or_b32 v0, 0xffe, v18, v0
	v_and_or_b32 v18, 0x8000, v23, v15
	v_cmp_eq_u32_e64 s0, 3, v24
	global_load_dword v24, v33, s[18:19] offset:1936
	s_waitcnt lgkmcnt(0)
	v_lshrrev_b32_e32 v23, 16, v13
	v_or_b32_e32 v15, 0x1000, v0
	v_and_or_b32 v11, 0x1ff, v12, v11
	s_or_b32 vcc_lo, s0, vcc_lo
	v_bfe_u32 v28, v12, 20, 11
	v_add_co_ci_u32_e32 v16, vcc_lo, 0, v16, vcc_lo
	v_lshrrev_b32_e32 v26, v17, v15
	v_cmp_gt_i32_e32 vcc_lo, 31, v20
	s_waitcnt vmcnt(4)
	v_mul_f16_sdwa v25, v23, v5 dst_sel:DWORD dst_unused:UNUSED_PAD src0_sel:DWORD src1_sel:WORD_1
	v_and_b32_e32 v18, 0xffff, v18
	v_lshrrev_b32_e32 v1, 16, v1
	v_lshlrev_b32_e32 v17, v17, v26
	v_cndmask_b32_e32 v27, 0x7c00, v16, vcc_lo
	v_fmac_f16_e32 v25, v13, v5
	v_mul_f16_sdwa v13, v13, v5 dst_sel:DWORD dst_unused:UNUSED_PAD src0_sel:DWORD src1_sel:WORD_1
	v_cmp_ne_u32_e32 vcc_lo, v17, v15
	v_cvt_f32_f16_e32 v16, v25
	v_lshrrev_b32_e32 v25, 8, v12
	v_fma_f16 v5, v5, v23, -v13
	v_cndmask_b32_e64 v17, 0, 1, vcc_lo
	v_cmp_ne_u32_e32 vcc_lo, 0, v11
	v_cvt_f64_f32_e32 v[15:16], v16
	v_add_nc_u32_e32 v23, 0xfffffc10, v28
	v_cvt_f32_f16_e32 v5, v5
	v_or_b32_e32 v17, v26, v17
	v_cndmask_b32_e64 v11, 0, 1, vcc_lo
	v_cmp_ne_u32_e32 vcc_lo, 0, v9
	v_lshl_or_b32 v26, v22, 12, v0
	v_lshrrev_b32_e32 v12, 16, v12
	v_and_or_b32 v11, 0xffe, v25, v11
	v_sub_nc_u32_e32 v25, 0x3f1, v28
	v_cndmask_b32_e64 v9, 0, 1, vcc_lo
	v_cmp_gt_i32_e32 vcc_lo, 1, v22
	v_or_b32_e32 v29, 0x1000, v11
	v_med3_i32 v25, v25, 0, 13
	v_lshl_or_b32 v9, v9, 9, 0x7c00
	v_cndmask_b32_e32 v17, v26, v17, vcc_lo
	v_cmp_eq_u32_e32 vcc_lo, 0x40f, v20
	v_lshrrev_b32_e32 v26, v25, v29
	v_and_b32_e32 v30, 7, v17
	v_cndmask_b32_e32 v20, v27, v9, vcc_lo
	v_lshrrev_b32_e32 v27, 16, v10
	v_lshlrev_b32_e32 v13, v25, v26
	v_mul_f64 v[9:10], v[15:16], s[20:21]
	v_cmp_lt_i32_e32 vcc_lo, 5, v30
	v_cvt_f64_f32_e32 v[15:16], v5
	v_lshrrev_b32_e32 v5, 2, v17
	v_cmp_ne_u32_e64 s0, v13, v29
	v_lshl_or_b32 v17, v23, 12, v11
	v_and_or_b32 v20, 0x8000, v27, v20
	v_cndmask_b32_e64 v13, 0, 1, s0
	v_cmp_eq_u32_e64 s0, 3, v30
	v_lshl_or_b32 v18, v20, 16, v18
	v_or_b32_e32 v13, v26, v13
	s_or_b32 vcc_lo, s0, vcc_lo
	v_lshrrev_b32_e32 v26, 16, v14
	v_add_co_ci_u32_e32 v5, vcc_lo, 0, v5, vcc_lo
	v_cmp_ne_u32_e32 vcc_lo, 0, v0
	v_and_or_b32 v9, 0x1ff, v10, v9
	v_lshrrev_b32_e32 v20, 8, v10
	v_cndmask_b32_e64 v0, 0, 1, vcc_lo
	v_cmp_gt_i32_e32 vcc_lo, 1, v23
	v_bfe_u32 v25, v10, 20, 11
	v_mul_f64 v[15:16], v[15:16], s[20:21]
	v_lshl_or_b32 v0, v0, 9, 0x7c00
	v_cndmask_b32_e32 v13, v17, v13, vcc_lo
	v_cmp_gt_i32_e32 vcc_lo, 31, v22
	v_and_b32_e32 v17, 7, v13
	v_cndmask_b32_e32 v5, 0x7c00, v5, vcc_lo
	v_cmp_ne_u32_e32 vcc_lo, 0, v9
	v_lshrrev_b32_e32 v13, 2, v13
	v_cmp_eq_u32_e64 s0, 3, v17
	v_cndmask_b32_e64 v9, 0, 1, vcc_lo
	v_cmp_eq_u32_e32 vcc_lo, 0x40f, v22
	v_and_or_b32 v9, 0xffe, v20, v9
	v_cndmask_b32_e32 v0, v5, v0, vcc_lo
	v_sub_nc_u32_e32 v5, 0x3f1, v25
	v_cmp_lt_i32_e32 vcc_lo, 5, v17
	v_or_b32_e32 v17, 0x1000, v9
	v_and_or_b32 v22, 0x8000, v1, v0
	v_med3_i32 v5, v5, 0, 13
	s_or_b32 vcc_lo, s0, vcc_lo
	s_waitcnt vmcnt(3)
	v_mul_f16_sdwa v1, v26, v4 dst_sel:DWORD dst_unused:UNUSED_PAD src0_sel:DWORD src1_sel:WORD_1
	v_add_co_ci_u32_e32 v13, vcc_lo, 0, v13, vcc_lo
	v_lshrrev_b32_e32 v20, v5, v17
	v_cmp_gt_i32_e32 vcc_lo, 31, v23
	v_fmac_f16_e32 v1, v14, v4
	v_and_b32_e32 v22, 0xffff, v22
	v_lshlrev_b32_e32 v0, v5, v20
	v_cndmask_b32_e32 v13, 0x7c00, v13, vcc_lo
	v_cmp_ne_u32_e32 vcc_lo, 0, v11
	v_and_or_b32 v11, 0x1ff, v16, v15
	v_add_nc_u32_e32 v15, 0xfffffc10, v25
	v_bfe_u32 v25, v16, 20, 11
	v_cvt_f32_f16_e32 v1, v1
	v_cndmask_b32_e64 v5, 0, 1, vcc_lo
	v_cmp_ne_u32_e32 vcc_lo, v0, v17
	v_lshrrev_b32_e32 v17, 8, v16
	v_lshl_or_b32 v27, v15, 12, v9
	v_lshrrev_b32_e32 v16, 16, v16
	v_lshl_or_b32 v5, v5, 9, 0x7c00
	v_cndmask_b32_e64 v0, 0, 1, vcc_lo
	v_cmp_ne_u32_e32 vcc_lo, 0, v11
	v_or_b32_e32 v20, v20, v0
	v_cndmask_b32_e64 v11, 0, 1, vcc_lo
	v_cmp_gt_i32_e32 vcc_lo, 1, v15
	v_cvt_f64_f32_e32 v[0:1], v1
	v_and_or_b32 v17, 0xffe, v17, v11
	v_sub_nc_u32_e32 v11, 0x3f1, v25
	v_cndmask_b32_e32 v20, v27, v20, vcc_lo
	v_cmp_eq_u32_e32 vcc_lo, 0x40f, v23
	v_or_b32_e32 v27, 0x1000, v17
	v_med3_i32 v11, v11, 0, 13
	v_cndmask_b32_e32 v5, v13, v5, vcc_lo
	v_and_b32_e32 v13, 7, v20
	v_add_co_u32 v7, vcc_lo, v7, s17
	v_lshrrev_b32_e32 v23, v11, v27
	v_and_or_b32 v28, 0x8000, v12, v5
	v_add_co_ci_u32_e32 v8, vcc_lo, s22, v8, vcc_lo
	v_cmp_lt_i32_e32 vcc_lo, 5, v13
	v_lshlrev_b32_e32 v5, v11, v23
	v_cmp_eq_u32_e64 s0, 3, v13
	v_mul_f16_sdwa v12, v14, v4 dst_sel:DWORD dst_unused:UNUSED_PAD src0_sel:DWORD src1_sel:WORD_1
	v_lshrrev_b32_e32 v11, 2, v20
	v_mul_f64 v[0:1], v[0:1], s[20:21]
	v_cmp_ne_u32_e64 s1, v5, v27
	s_or_b32 vcc_lo, s0, vcc_lo
	v_fma_f16 v4, v4, v26, -v12
	v_add_co_ci_u32_e32 v14, vcc_lo, 0, v11, vcc_lo
	v_cndmask_b32_e64 v5, 0, 1, s1
	v_add_nc_u32_e32 v13, 0xfffffc10, v25
	v_cmp_ne_u32_e32 vcc_lo, 0, v9
	v_cvt_f32_f16_e32 v20, v4
	v_lshrrev_b32_e32 v26, 16, v10
	v_or_b32_e32 v11, v23, v5
	ds_read2_b32 v[4:5], v21 offset0:140 offset1:184
	v_lshl_or_b32 v12, v13, 12, v17
	v_cndmask_b32_e64 v9, 0, 1, vcc_lo
	v_cmp_gt_i32_e32 vcc_lo, 1, v13
	v_lshl_or_b32 v22, v28, 16, v22
	v_lshl_or_b32 v9, v9, 9, 0x7c00
	v_cndmask_b32_e32 v21, v12, v11, vcc_lo
	v_cmp_gt_i32_e32 vcc_lo, 31, v15
	v_cvt_f64_f32_e32 v[11:12], v20
	v_and_or_b32 v0, 0x1ff, v1, v0
	v_and_b32_e32 v20, 7, v21
	v_cndmask_b32_e32 v14, 0x7c00, v14, vcc_lo
	v_cmp_eq_u32_e32 vcc_lo, 0x40f, v15
	v_cmp_ne_u32_e64 s1, 0, v0
	v_cmp_eq_u32_e64 s0, 3, v20
	v_cndmask_b32_e32 v15, v14, v9, vcc_lo
	v_cmp_lt_i32_e32 vcc_lo, 5, v20
	v_lshrrev_b32_e32 v9, 2, v21
	s_waitcnt lgkmcnt(0)
	v_lshrrev_b32_e32 v21, 16, v4
	v_cndmask_b32_e64 v0, 0, 1, s1
	v_lshrrev_b32_e32 v14, 8, v1
	s_or_b32 vcc_lo, s0, vcc_lo
	v_bfe_u32 v20, v1, 20, 11
	v_add_co_ci_u32_e32 v9, vcc_lo, 0, v9, vcc_lo
	s_waitcnt vmcnt(2)
	v_mul_f16_sdwa v23, v21, v6 dst_sel:DWORD dst_unused:UNUSED_PAD src0_sel:DWORD src1_sel:WORD_1
	v_cmp_ne_u32_e32 vcc_lo, 0, v17
	v_mul_f64 v[11:12], v[11:12], s[20:21]
	v_and_or_b32 v0, 0xffe, v14, v0
	v_sub_nc_u32_e32 v14, 0x3f1, v20
	v_fmac_f16_e32 v23, v4, v6
	v_cndmask_b32_e64 v17, 0, 1, vcc_lo
	v_cmp_gt_i32_e32 vcc_lo, 31, v13
	v_or_b32_e32 v25, 0x1000, v0
	v_med3_i32 v14, v14, 0, 13
	v_cvt_f32_f16_e32 v23, v23
	v_lshl_or_b32 v17, v17, 9, 0x7c00
	v_cndmask_b32_e32 v9, 0x7c00, v9, vcc_lo
	v_cmp_eq_u32_e32 vcc_lo, 0x40f, v13
	v_lshrrev_b32_e32 v27, v14, v25
	v_add_nc_u32_e32 v20, 0xfffffc10, v20
	v_and_or_b32 v15, 0x8000, v26, v15
	v_mul_f16_sdwa v4, v4, v6 dst_sel:DWORD dst_unused:UNUSED_PAD src0_sel:DWORD src1_sel:WORD_1
	v_cndmask_b32_e32 v17, v9, v17, vcc_lo
	v_cvt_f64_f32_e32 v[9:10], v23
	v_lshlrev_b32_e32 v23, v14, v27
	v_add_co_u32 v13, vcc_lo, v7, s17
	v_add_co_ci_u32_e32 v14, vcc_lo, s22, v8, vcc_lo
	v_and_or_b32 v11, 0x1ff, v12, v11
	v_cmp_ne_u32_e32 vcc_lo, v23, v25
	v_and_or_b32 v16, 0x8000, v16, v17
	v_lshrrev_b32_e32 v23, 8, v12
	v_bfe_u32 v25, v12, 20, 11
	v_lshl_or_b32 v26, v20, 12, v0
	v_cndmask_b32_e64 v17, 0, 1, vcc_lo
	v_cmp_ne_u32_e32 vcc_lo, 0, v11
	v_and_b32_e32 v15, 0xffff, v15
	global_store_dword v[7:8], v18, off
	global_store_dword v[13:14], v22, off
	v_fma_f16 v4, v6, v21, -v4
	v_or_b32_e32 v17, v27, v17
	v_cndmask_b32_e64 v11, 0, 1, vcc_lo
	v_cmp_gt_i32_e32 vcc_lo, 1, v20
	v_lshl_or_b32 v15, v16, 16, v15
	v_cvt_f32_f16_e32 v4, v4
	v_mul_f64 v[9:10], v[9:10], s[20:21]
	v_and_or_b32 v11, 0xffe, v23, v11
	v_sub_nc_u32_e32 v23, 0x3f1, v25
	v_cndmask_b32_e32 v17, v26, v17, vcc_lo
	v_add_co_u32 v7, vcc_lo, v13, s17
	v_or_b32_e32 v26, 0x1000, v11
	v_med3_i32 v23, v23, 0, 13
	v_and_b32_e32 v16, 7, v17
	v_add_co_ci_u32_e32 v8, vcc_lo, s22, v14, vcc_lo
	v_lshrrev_b32_e32 v14, 2, v17
	v_lshrrev_b32_e32 v18, v23, v26
	v_cmp_lt_i32_e32 vcc_lo, 5, v16
	v_cmp_eq_u32_e64 s0, 3, v16
	v_add_nc_u32_e32 v16, 0xfffffc10, v25
	v_lshrrev_b32_e32 v12, 16, v12
	v_lshlrev_b32_e32 v13, v23, v18
	v_lshrrev_b32_e32 v23, 16, v5
	s_or_b32 vcc_lo, s0, vcc_lo
	global_store_dword v[7:8], v15, off
	v_add_co_ci_u32_e32 v17, vcc_lo, 0, v14, vcc_lo
	v_and_or_b32 v9, 0x1ff, v10, v9
	v_cmp_ne_u32_e64 s1, v13, v26
	v_cvt_f64_f32_e32 v[13:14], v4
	v_bfe_u32 v21, v10, 20, 11
	v_cmp_ne_u32_e32 vcc_lo, 0, v9
	v_cndmask_b32_e64 v6, 0, 1, s1
	v_lshrrev_b32_e32 v9, 8, v10
	v_lshrrev_b32_e32 v10, 16, v10
	v_cndmask_b32_e64 v4, 0, 1, vcc_lo
	v_cmp_ne_u32_e32 vcc_lo, 0, v0
	v_or_b32_e32 v6, v18, v6
	v_lshl_or_b32 v18, v16, 12, v11
	v_and_or_b32 v4, 0xffe, v9, v4
	v_cndmask_b32_e64 v0, 0, 1, vcc_lo
	v_cmp_gt_i32_e32 vcc_lo, 1, v16
	v_sub_nc_u32_e32 v9, 0x3f1, v21
	v_or_b32_e32 v22, 0x1000, v4
	v_lshl_or_b32 v0, v0, 9, 0x7c00
	v_cndmask_b32_e32 v6, v18, v6, vcc_lo
	v_cmp_gt_i32_e32 vcc_lo, 31, v20
	v_med3_i32 v9, v9, 0, 13
	v_mul_f64 v[13:14], v[13:14], s[20:21]
	v_and_b32_e32 v18, 7, v6
	v_cndmask_b32_e32 v17, 0x7c00, v17, vcc_lo
	v_cmp_eq_u32_e32 vcc_lo, 0x40f, v20
	v_lshrrev_b32_e32 v20, v9, v22
	v_cmp_eq_u32_e64 s0, 3, v18
	v_cndmask_b32_e32 v17, v17, v0, vcc_lo
	v_cmp_lt_i32_e32 vcc_lo, 5, v18
	v_lshrrev_b32_e32 v18, 16, v1
	v_lshrrev_b32_e32 v1, 2, v6
	v_lshlrev_b32_e32 v6, v9, v20
	s_waitcnt vmcnt(1)
	v_mul_f16_sdwa v0, v23, v19 dst_sel:DWORD dst_unused:UNUSED_PAD src0_sel:DWORD src1_sel:WORD_1
	s_or_b32 vcc_lo, s0, vcc_lo
	v_and_or_b32 v17, 0x8000, v18, v17
	v_add_co_ci_u32_e32 v1, vcc_lo, 0, v1, vcc_lo
	v_cmp_ne_u32_e32 vcc_lo, 0, v11
	v_fmac_f16_e32 v0, v5, v19
	v_add_nc_u32_e32 v11, 0xfffffc10, v21
	v_and_or_b32 v13, 0x1ff, v14, v13
	v_cndmask_b32_e64 v9, 0, 1, vcc_lo
	v_cmp_ne_u32_e32 vcc_lo, v6, v22
	v_cvt_f32_f16_e32 v0, v0
	v_lshl_or_b32 v9, v9, 9, 0x7c00
	v_cndmask_b32_e64 v6, 0, 1, vcc_lo
	v_cmp_gt_i32_e32 vcc_lo, 31, v16
	v_or_b32_e32 v6, v20, v6
	v_cndmask_b32_e32 v21, 0x7c00, v1, vcc_lo
	v_cmp_eq_u32_e32 vcc_lo, 0x40f, v16
	v_cvt_f64_f32_e32 v[0:1], v0
	v_lshl_or_b32 v20, v11, 12, v4
	v_lshrrev_b32_e32 v16, 8, v14
	v_cndmask_b32_e32 v9, v21, v9, vcc_lo
	v_cmp_gt_i32_e32 vcc_lo, 1, v11
	v_mul_f16_sdwa v21, v5, v19 dst_sel:DWORD dst_unused:UNUSED_PAD src0_sel:DWORD src1_sel:WORD_1
	v_and_or_b32 v9, 0x8000, v12, v9
	v_cndmask_b32_e32 v6, v20, v6, vcc_lo
	v_cmp_ne_u32_e32 vcc_lo, 0, v13
	v_bfe_u32 v20, v14, 20, 11
	v_lshrrev_b32_e32 v14, 16, v14
	v_and_b32_e32 v18, 7, v6
	v_cndmask_b32_e64 v13, 0, 1, vcc_lo
	v_sub_nc_u32_e32 v12, 0x3f1, v20
	v_lshrrev_b32_e32 v6, 2, v6
	v_cmp_lt_i32_e32 vcc_lo, 5, v18
	v_and_or_b32 v13, 0xffe, v16, v13
	v_cmp_eq_u32_e64 s0, 3, v18
	v_mul_f64 v[0:1], v[0:1], s[20:21]
	v_and_b32_e32 v16, 0xffff, v17
	v_med3_i32 v12, v12, 0, 13
	v_or_b32_e32 v17, 0x1000, v13
	s_or_b32 vcc_lo, s0, vcc_lo
	v_add_co_ci_u32_e32 v6, vcc_lo, 0, v6, vcc_lo
	v_lshl_or_b32 v15, v9, 16, v16
	v_lshrrev_b32_e32 v9, v12, v17
	v_cmp_ne_u32_e32 vcc_lo, 0, v4
	v_add_nc_u32_e32 v16, 0x600, v33
	v_lshlrev_b32_e32 v12, v12, v9
	v_cndmask_b32_e64 v4, 0, 1, vcc_lo
	v_cmp_gt_i32_e32 vcc_lo, 31, v11
	v_lshl_or_b32 v18, v4, 9, 0x7c00
	v_cndmask_b32_e32 v6, 0x7c00, v6, vcc_lo
	v_cmp_ne_u32_e32 vcc_lo, v12, v17
	ds_read2_b32 v[4:5], v16 offset0:100 offset1:144
	v_and_or_b32 v0, 0x1ff, v1, v0
	v_fma_f16 v17, v19, v23, -v21
	v_add_nc_u32_e32 v16, 0xfffffc10, v20
	v_cndmask_b32_e64 v12, 0, 1, vcc_lo
	v_cmp_eq_u32_e32 vcc_lo, 0x40f, v11
	v_bfe_u32 v19, v1, 20, 11
	v_cvt_f32_f16_e32 v11, v17
	v_lshrrev_b32_e32 v17, 8, v1
	v_lshrrev_b32_e32 v1, 16, v1
	v_cndmask_b32_e32 v18, v6, v18, vcc_lo
	v_cmp_ne_u32_e32 vcc_lo, 0, v0
	v_or_b32_e32 v6, v9, v12
	v_lshl_or_b32 v9, v16, 12, v13
	v_cvt_f64_f32_e32 v[11:12], v11
	v_and_or_b32 v18, 0x8000, v10, v18
	v_cndmask_b32_e64 v0, 0, 1, vcc_lo
	v_cmp_gt_i32_e32 vcc_lo, 1, v16
	v_and_or_b32 v0, 0xffe, v17, v0
	v_cndmask_b32_e32 v9, v9, v6, vcc_lo
	v_sub_nc_u32_e32 v6, 0x3f1, v19
	s_waitcnt lgkmcnt(0)
	v_lshrrev_b32_e32 v17, 16, v4
	v_add_nc_u32_e32 v19, 0xfffffc10, v19
	v_or_b32_e32 v21, 0x1000, v0
	v_and_b32_e32 v20, 7, v9
	v_med3_i32 v22, v6, 0, 13
	s_waitcnt vmcnt(0)
	v_mul_f16_sdwa v23, v17, v24 dst_sel:DWORD dst_unused:UNUSED_PAD src0_sel:DWORD src1_sel:WORD_1
	v_add_co_u32 v6, vcc_lo, v7, s17
	v_add_co_ci_u32_e32 v7, vcc_lo, s22, v8, vcc_lo
	v_lshrrev_b32_e32 v25, v22, v21
	v_fmac_f16_e32 v23, v4, v24
	v_cmp_lt_i32_e32 vcc_lo, 5, v20
	v_cmp_eq_u32_e64 s0, 3, v20
	v_lshrrev_b32_e32 v10, 2, v9
	v_lshlrev_b32_e32 v20, v22, v25
	v_cvt_f32_f16_e32 v22, v23
	v_mul_f64 v[8:9], v[11:12], s[20:21]
	s_or_b32 vcc_lo, s0, vcc_lo
	v_mul_f16_sdwa v4, v4, v24 dst_sel:DWORD dst_unused:UNUSED_PAD src0_sel:DWORD src1_sel:WORD_1
	v_add_co_ci_u32_e32 v12, vcc_lo, 0, v10, vcc_lo
	v_cmp_ne_u32_e32 vcc_lo, v20, v21
	v_cvt_f64_f32_e32 v[10:11], v22
	v_lshl_or_b32 v21, v19, 12, v0
	v_fma_f16 v4, v24, v17, -v4
	v_cndmask_b32_e64 v20, 0, 1, vcc_lo
	v_cmp_ne_u32_e32 vcc_lo, 0, v13
	v_cvt_f32_f16_e32 v4, v4
	v_or_b32_e32 v20, v25, v20
	v_cndmask_b32_e64 v13, 0, 1, vcc_lo
	v_cmp_gt_i32_e32 vcc_lo, 31, v16
	v_lshl_or_b32 v13, v13, 9, 0x7c00
	v_cndmask_b32_e32 v12, 0x7c00, v12, vcc_lo
	v_cmp_gt_i32_e32 vcc_lo, 1, v19
	v_and_or_b32 v8, 0x1ff, v9, v8
	v_cndmask_b32_e32 v17, v21, v20, vcc_lo
	v_cmp_eq_u32_e32 vcc_lo, 0x40f, v16
	v_mul_f64 v[10:11], v[10:11], s[20:21]
	v_lshrrev_b32_e32 v20, 8, v9
	v_bfe_u32 v21, v9, 20, 11
	v_lshrrev_b32_e32 v9, 16, v9
	v_cndmask_b32_e32 v16, v12, v13, vcc_lo
	v_cvt_f64_f32_e32 v[12:13], v4
	v_cmp_ne_u32_e32 vcc_lo, 0, v8
	v_and_b32_e32 v4, 7, v17
	v_and_or_b32 v14, 0x8000, v14, v16
	v_and_b32_e32 v16, 0xffff, v18
	v_cndmask_b32_e64 v8, 0, 1, vcc_lo
	v_cmp_lt_i32_e32 vcc_lo, 5, v4
	v_cmp_eq_u32_e64 s0, 3, v4
	v_sub_nc_u32_e32 v18, 0x3f1, v21
	v_lshl_or_b32 v4, v14, 16, v16
	v_lshrrev_b32_e32 v14, 2, v17
	v_and_or_b32 v8, 0xffe, v20, v8
	s_or_b32 vcc_lo, s0, vcc_lo
	v_med3_i32 v17, v18, 0, 13
	v_add_co_ci_u32_e32 v14, vcc_lo, 0, v14, vcc_lo
	v_or_b32_e32 v16, 0x1000, v8
	v_cmp_ne_u32_e32 vcc_lo, 0, v0
	v_and_or_b32 v10, 0x1ff, v11, v10
	v_lshrrev_b32_e32 v20, 8, v11
	v_mul_f64 v[12:13], v[12:13], s[20:21]
	v_lshrrev_b32_e32 v18, v17, v16
	v_cndmask_b32_e64 v0, 0, 1, vcc_lo
	v_cmp_gt_i32_e32 vcc_lo, 31, v19
	v_bfe_u32 v22, v11, 20, 11
	v_lshrrev_b32_e32 v11, 16, v11
	v_lshlrev_b32_e32 v17, v17, v18
	v_lshl_or_b32 v0, v0, 9, 0x7c00
	v_cndmask_b32_e32 v14, 0x7c00, v14, vcc_lo
	v_cmp_ne_u32_e32 vcc_lo, 0, v10
	v_cndmask_b32_e64 v10, 0, 1, vcc_lo
	v_cmp_ne_u32_e32 vcc_lo, v17, v16
	v_add_nc_u32_e32 v17, 0xfffffc10, v21
	v_and_or_b32 v10, 0xffe, v20, v10
	v_cndmask_b32_e64 v16, 0, 1, vcc_lo
	v_sub_nc_u32_e32 v20, 0x3f1, v22
	v_cmp_eq_u32_e32 vcc_lo, 0x40f, v19
	v_and_or_b32 v12, 0x1ff, v13, v12
	v_bfe_u32 v21, v13, 20, 11
	v_med3_i32 v19, v20, 0, 13
	v_cndmask_b32_e32 v0, v14, v0, vcc_lo
	v_or_b32_e32 v14, v18, v16
	v_lshl_or_b32 v16, v17, 12, v8
	v_or_b32_e32 v18, 0x1000, v10
	v_cmp_gt_i32_e32 vcc_lo, 1, v17
	v_lshrrev_b32_e32 v20, 8, v13
	v_and_or_b32 v0, 0x8000, v1, v0
	v_cndmask_b32_e32 v14, v16, v14, vcc_lo
	v_lshrrev_b32_e32 v16, v19, v18
	v_cmp_ne_u32_e32 vcc_lo, 0, v12
	v_and_b32_e32 v23, 7, v14
	v_lshlrev_b32_e32 v19, v19, v16
	v_cndmask_b32_e64 v12, 0, 1, vcc_lo
	v_lshrrev_b32_e32 v14, 2, v14
	v_cmp_lt_i32_e32 vcc_lo, 5, v23
	v_cmp_ne_u32_e64 s0, v19, v18
	v_and_or_b32 v1, 0xffe, v20, v12
	v_sub_nc_u32_e32 v12, 0x3f1, v21
	v_add_nc_u32_e32 v20, 0xfffffc10, v22
	v_cndmask_b32_e64 v18, 0, 1, s0
	v_cmp_eq_u32_e64 s0, 3, v23
	v_or_b32_e32 v19, 0x1000, v1
	v_med3_i32 v12, v12, 0, 13
	v_lshl_or_b32 v22, v20, 12, v10
	v_or_b32_e32 v16, v16, v18
	s_or_b32 vcc_lo, s0, vcc_lo
	v_add_co_ci_u32_e32 v14, vcc_lo, 0, v14, vcc_lo
	v_lshrrev_b32_e32 v18, v12, v19
	v_cmp_gt_i32_e32 vcc_lo, 1, v20
	v_lshlrev_b32_e32 v12, v12, v18
	v_cndmask_b32_e32 v16, v22, v16, vcc_lo
	v_cmp_ne_u32_e32 vcc_lo, 0, v8
	v_cndmask_b32_e64 v8, 0, 1, vcc_lo
	v_cmp_ne_u32_e32 vcc_lo, v12, v19
	v_add_nc_u32_e32 v19, 0xfffffc10, v21
	v_and_b32_e32 v21, 7, v16
	v_lshl_or_b32 v8, v8, 9, 0x7c00
	v_cndmask_b32_e64 v12, 0, 1, vcc_lo
	v_cmp_gt_i32_e32 vcc_lo, 31, v17
	v_cmp_gt_i32_e64 s1, 1, v19
	v_cmp_eq_u32_e64 s0, 3, v21
	v_or_b32_e32 v12, v18, v12
	v_lshl_or_b32 v18, v19, 12, v1
	v_cndmask_b32_e32 v14, 0x7c00, v14, vcc_lo
	v_cmp_lt_i32_e32 vcc_lo, 5, v21
	v_cndmask_b32_e64 v12, v18, v12, s1
	v_cmp_eq_u32_e64 s1, 0x40f, v17
	s_or_b32 vcc_lo, s0, vcc_lo
	v_cndmask_b32_e64 v8, v14, v8, s1
	v_lshrrev_b32_e32 v14, 2, v16
	v_and_b32_e32 v16, 7, v12
	v_lshrrev_b32_e32 v12, 2, v12
	v_cmp_gt_i32_e64 s1, 31, v20
	v_and_or_b32 v8, 0x8000, v9, v8
	v_add_co_ci_u32_e32 v14, vcc_lo, 0, v14, vcc_lo
	v_cmp_ne_u32_e32 vcc_lo, 0, v10
	v_cmp_eq_u32_e64 s0, 3, v16
	v_and_b32_e32 v9, 0xffff, v0
	v_cndmask_b32_e64 v14, 0x7c00, v14, s1
	v_cndmask_b32_e64 v10, 0, 1, vcc_lo
	v_cmp_lt_i32_e32 vcc_lo, 5, v16
	v_lshl_or_b32 v10, v10, 9, 0x7c00
	s_or_b32 vcc_lo, s0, vcc_lo
	v_add_co_ci_u32_e32 v12, vcc_lo, 0, v12, vcc_lo
	v_cmp_ne_u32_e32 vcc_lo, 0, v1
	v_cndmask_b32_e64 v1, 0, 1, vcc_lo
	v_cmp_eq_u32_e32 vcc_lo, 0x40f, v20
	v_lshl_or_b32 v1, v1, 9, 0x7c00
	v_cndmask_b32_e32 v10, v14, v10, vcc_lo
	v_cmp_gt_i32_e32 vcc_lo, 31, v19
	v_and_or_b32 v10, 0x8000, v11, v10
	v_cndmask_b32_e32 v12, 0x7c00, v12, vcc_lo
	v_cmp_eq_u32_e32 vcc_lo, 0x40f, v19
	v_and_b32_e32 v10, 0xffff, v10
	v_cndmask_b32_e32 v11, v12, v1, vcc_lo
	v_lshrrev_b32_e32 v12, 16, v13
	v_add_co_u32 v0, vcc_lo, v6, s17
	v_add_co_ci_u32_e32 v1, vcc_lo, s22, v7, vcc_lo
	v_lshl_or_b32 v13, v8, 16, v9
	v_and_or_b32 v11, 0x8000, v12, v11
	v_add_co_u32 v8, vcc_lo, v0, s17
	v_add_co_ci_u32_e32 v9, vcc_lo, s22, v1, vcc_lo
	v_lshl_or_b32 v12, v11, 16, v10
	v_add_co_u32 v10, vcc_lo, v8, s17
	v_add_co_ci_u32_e32 v11, vcc_lo, s22, v9, vcc_lo
	v_add_co_u32 v2, vcc_lo, 0x800, v2
	v_add_co_ci_u32_e32 v3, vcc_lo, 0, v3, vcc_lo
	global_store_dword v[6:7], v15, off
	global_store_dword v[0:1], v4, off
	;; [unrolled: 1-line block ×4, first 2 shown]
	v_lshrrev_b32_e32 v1, 16, v5
	global_load_dword v0, v[2:3], off offset:64
	s_waitcnt vmcnt(0)
	v_mul_f16_sdwa v2, v1, v0 dst_sel:DWORD dst_unused:UNUSED_PAD src0_sel:DWORD src1_sel:WORD_1
	v_mul_f16_sdwa v3, v5, v0 dst_sel:DWORD dst_unused:UNUSED_PAD src0_sel:DWORD src1_sel:WORD_1
	v_fmac_f16_e32 v2, v5, v0
	v_fma_f16 v0, v0, v1, -v3
	v_cvt_f32_f16_e32 v1, v2
	v_cvt_f32_f16_e32 v2, v0
	v_cvt_f64_f32_e32 v[0:1], v1
	v_cvt_f64_f32_e32 v[2:3], v2
	v_mul_f64 v[0:1], v[0:1], s[20:21]
	v_mul_f64 v[2:3], v[2:3], s[20:21]
	v_and_or_b32 v0, 0x1ff, v1, v0
	v_and_or_b32 v2, 0x1ff, v3, v2
	v_lshrrev_b32_e32 v4, 8, v1
	v_bfe_u32 v5, v1, 20, 11
	v_lshrrev_b32_e32 v6, 8, v3
	v_cmp_ne_u32_e32 vcc_lo, 0, v0
	v_bfe_u32 v7, v3, 20, 11
	v_lshrrev_b32_e32 v1, 16, v1
	v_lshrrev_b32_e32 v3, 16, v3
	v_cndmask_b32_e64 v0, 0, 1, vcc_lo
	v_cmp_ne_u32_e32 vcc_lo, 0, v2
	v_and_or_b32 v0, 0xffe, v4, v0
	v_cndmask_b32_e64 v2, 0, 1, vcc_lo
	v_sub_nc_u32_e32 v4, 0x3f1, v5
	v_add_nc_u32_e32 v5, 0xfffffc10, v5
	v_or_b32_e32 v8, 0x1000, v0
	v_and_or_b32 v2, 0xffe, v6, v2
	v_sub_nc_u32_e32 v6, 0x3f1, v7
	v_med3_i32 v4, v4, 0, 13
	v_add_nc_u32_e32 v7, 0xfffffc10, v7
	v_or_b32_e32 v9, 0x1000, v2
	v_med3_i32 v6, v6, 0, 13
	v_lshrrev_b32_e32 v12, v4, v8
	v_lshrrev_b32_e32 v13, v6, v9
	v_lshlrev_b32_e32 v4, v4, v12
	v_lshlrev_b32_e32 v6, v6, v13
	v_cmp_ne_u32_e32 vcc_lo, v4, v8
	v_lshl_or_b32 v8, v5, 12, v0
	v_cndmask_b32_e64 v4, 0, 1, vcc_lo
	v_cmp_ne_u32_e32 vcc_lo, v6, v9
	v_lshl_or_b32 v9, v7, 12, v2
	v_or_b32_e32 v4, v12, v4
	v_cndmask_b32_e64 v6, 0, 1, vcc_lo
	v_cmp_gt_i32_e32 vcc_lo, 1, v5
	v_or_b32_e32 v6, v13, v6
	v_cndmask_b32_e32 v4, v8, v4, vcc_lo
	v_cmp_gt_i32_e32 vcc_lo, 1, v7
	v_and_b32_e32 v8, 7, v4
	v_cndmask_b32_e32 v6, v9, v6, vcc_lo
	v_lshrrev_b32_e32 v4, 2, v4
	v_cmp_lt_i32_e32 vcc_lo, 5, v8
	v_cmp_eq_u32_e64 s0, 3, v8
	v_and_b32_e32 v9, 7, v6
	v_lshrrev_b32_e32 v6, 2, v6
	s_or_b32 vcc_lo, s0, vcc_lo
	v_cmp_lt_i32_e64 s1, 5, v9
	v_add_co_ci_u32_e32 v4, vcc_lo, 0, v4, vcc_lo
	v_cmp_eq_u32_e64 s2, 3, v9
	v_cmp_ne_u32_e32 vcc_lo, 0, v0
	v_cndmask_b32_e64 v0, 0, 1, vcc_lo
	s_or_b32 vcc_lo, s2, s1
	v_add_co_ci_u32_e32 v6, vcc_lo, 0, v6, vcc_lo
	v_cmp_ne_u32_e32 vcc_lo, 0, v2
	v_lshl_or_b32 v0, v0, 9, 0x7c00
	v_cndmask_b32_e64 v2, 0, 1, vcc_lo
	v_cmp_gt_i32_e32 vcc_lo, 31, v5
	v_lshl_or_b32 v2, v2, 9, 0x7c00
	v_cndmask_b32_e32 v4, 0x7c00, v4, vcc_lo
	v_cmp_gt_i32_e32 vcc_lo, 31, v7
	v_cndmask_b32_e32 v6, 0x7c00, v6, vcc_lo
	v_cmp_eq_u32_e32 vcc_lo, 0x40f, v5
	v_cndmask_b32_e32 v0, v4, v0, vcc_lo
	v_cmp_eq_u32_e32 vcc_lo, 0x40f, v7
	v_and_or_b32 v0, 0x8000, v1, v0
	v_cndmask_b32_e32 v2, v6, v2, vcc_lo
	v_and_b32_e32 v0, 0xffff, v0
	v_and_or_b32 v1, 0x8000, v3, v2
	v_lshl_or_b32 v2, v1, 16, v0
	v_add_co_u32 v0, vcc_lo, v10, s17
	v_add_co_ci_u32_e32 v1, vcc_lo, s22, v11, vcc_lo
	global_store_dword v[0:1], v2, off
.LBB0_23:
	s_endpgm
	.section	.rodata,"a",@progbits
	.p2align	6, 0x0
	.amdhsa_kernel bluestein_single_fwd_len572_dim1_half_op_CI_CI
		.amdhsa_group_segment_fixed_size 2288
		.amdhsa_private_segment_fixed_size 0
		.amdhsa_kernarg_size 104
		.amdhsa_user_sgpr_count 6
		.amdhsa_user_sgpr_private_segment_buffer 1
		.amdhsa_user_sgpr_dispatch_ptr 0
		.amdhsa_user_sgpr_queue_ptr 0
		.amdhsa_user_sgpr_kernarg_segment_ptr 1
		.amdhsa_user_sgpr_dispatch_id 0
		.amdhsa_user_sgpr_flat_scratch_init 0
		.amdhsa_user_sgpr_private_segment_size 0
		.amdhsa_wavefront_size32 1
		.amdhsa_uses_dynamic_stack 0
		.amdhsa_system_sgpr_private_segment_wavefront_offset 0
		.amdhsa_system_sgpr_workgroup_id_x 1
		.amdhsa_system_sgpr_workgroup_id_y 0
		.amdhsa_system_sgpr_workgroup_id_z 0
		.amdhsa_system_sgpr_workgroup_info 0
		.amdhsa_system_vgpr_workitem_id 0
		.amdhsa_next_free_vgpr 155
		.amdhsa_next_free_sgpr 23
		.amdhsa_reserve_vcc 1
		.amdhsa_reserve_flat_scratch 0
		.amdhsa_float_round_mode_32 0
		.amdhsa_float_round_mode_16_64 0
		.amdhsa_float_denorm_mode_32 3
		.amdhsa_float_denorm_mode_16_64 3
		.amdhsa_dx10_clamp 1
		.amdhsa_ieee_mode 1
		.amdhsa_fp16_overflow 0
		.amdhsa_workgroup_processor_mode 1
		.amdhsa_memory_ordered 1
		.amdhsa_forward_progress 0
		.amdhsa_shared_vgpr_count 0
		.amdhsa_exception_fp_ieee_invalid_op 0
		.amdhsa_exception_fp_denorm_src 0
		.amdhsa_exception_fp_ieee_div_zero 0
		.amdhsa_exception_fp_ieee_overflow 0
		.amdhsa_exception_fp_ieee_underflow 0
		.amdhsa_exception_fp_ieee_inexact 0
		.amdhsa_exception_int_div_zero 0
	.end_amdhsa_kernel
	.text
.Lfunc_end0:
	.size	bluestein_single_fwd_len572_dim1_half_op_CI_CI, .Lfunc_end0-bluestein_single_fwd_len572_dim1_half_op_CI_CI
                                        ; -- End function
	.section	.AMDGPU.csdata,"",@progbits
; Kernel info:
; codeLenInByte = 22832
; NumSgprs: 25
; NumVgprs: 155
; ScratchSize: 0
; MemoryBound: 0
; FloatMode: 240
; IeeeMode: 1
; LDSByteSize: 2288 bytes/workgroup (compile time only)
; SGPRBlocks: 3
; VGPRBlocks: 19
; NumSGPRsForWavesPerEU: 25
; NumVGPRsForWavesPerEU: 155
; Occupancy: 6
; WaveLimiterHint : 1
; COMPUTE_PGM_RSRC2:SCRATCH_EN: 0
; COMPUTE_PGM_RSRC2:USER_SGPR: 6
; COMPUTE_PGM_RSRC2:TRAP_HANDLER: 0
; COMPUTE_PGM_RSRC2:TGID_X_EN: 1
; COMPUTE_PGM_RSRC2:TGID_Y_EN: 0
; COMPUTE_PGM_RSRC2:TGID_Z_EN: 0
; COMPUTE_PGM_RSRC2:TIDIG_COMP_CNT: 0
	.text
	.p2alignl 6, 3214868480
	.fill 48, 4, 3214868480
	.type	__hip_cuid_e3df50eab7ddce62,@object ; @__hip_cuid_e3df50eab7ddce62
	.section	.bss,"aw",@nobits
	.globl	__hip_cuid_e3df50eab7ddce62
__hip_cuid_e3df50eab7ddce62:
	.byte	0                               ; 0x0
	.size	__hip_cuid_e3df50eab7ddce62, 1

	.ident	"AMD clang version 19.0.0git (https://github.com/RadeonOpenCompute/llvm-project roc-6.4.0 25133 c7fe45cf4b819c5991fe208aaa96edf142730f1d)"
	.section	".note.GNU-stack","",@progbits
	.addrsig
	.addrsig_sym __hip_cuid_e3df50eab7ddce62
	.amdgpu_metadata
---
amdhsa.kernels:
  - .args:
      - .actual_access:  read_only
        .address_space:  global
        .offset:         0
        .size:           8
        .value_kind:     global_buffer
      - .actual_access:  read_only
        .address_space:  global
        .offset:         8
        .size:           8
        .value_kind:     global_buffer
      - .actual_access:  read_only
        .address_space:  global
        .offset:         16
        .size:           8
        .value_kind:     global_buffer
      - .actual_access:  read_only
        .address_space:  global
        .offset:         24
        .size:           8
        .value_kind:     global_buffer
      - .actual_access:  read_only
        .address_space:  global
        .offset:         32
        .size:           8
        .value_kind:     global_buffer
      - .offset:         40
        .size:           8
        .value_kind:     by_value
      - .address_space:  global
        .offset:         48
        .size:           8
        .value_kind:     global_buffer
      - .address_space:  global
        .offset:         56
        .size:           8
        .value_kind:     global_buffer
      - .address_space:  global
        .offset:         64
        .size:           8
        .value_kind:     global_buffer
      - .address_space:  global
        .offset:         72
        .size:           8
        .value_kind:     global_buffer
      - .offset:         80
        .size:           4
        .value_kind:     by_value
      - .address_space:  global
        .offset:         88
        .size:           8
        .value_kind:     global_buffer
      - .address_space:  global
        .offset:         96
        .size:           8
        .value_kind:     global_buffer
    .group_segment_fixed_size: 2288
    .kernarg_segment_align: 8
    .kernarg_segment_size: 104
    .language:       OpenCL C
    .language_version:
      - 2
      - 0
    .max_flat_workgroup_size: 52
    .name:           bluestein_single_fwd_len572_dim1_half_op_CI_CI
    .private_segment_fixed_size: 0
    .sgpr_count:     25
    .sgpr_spill_count: 0
    .symbol:         bluestein_single_fwd_len572_dim1_half_op_CI_CI.kd
    .uniform_work_group_size: 1
    .uses_dynamic_stack: false
    .vgpr_count:     155
    .vgpr_spill_count: 0
    .wavefront_size: 32
    .workgroup_processor_mode: 1
amdhsa.target:   amdgcn-amd-amdhsa--gfx1030
amdhsa.version:
  - 1
  - 2
...

	.end_amdgpu_metadata
